;; amdgpu-corpus repo=ROCm/aiter kind=harvested arch=n/a opt=n/a

/root/src/amdgpu-assembly/repos/ROCm__aiter/hsa/gfx942/fmoe/gelu/fmoe_int8_g1u1_subGU_192_gelu.co:	file format elf64-amdgpu

Disassembly of section .text:

0000000000002b00 <fmoe_int8_g1u1_subGU_192_gelu>:
	s_and_b32 s1, s1, 0xffff                                   // 000000002B00: 8601FF01 0000FFFF
	s_load_dwordx2 s[8:9], s[0:1], 0x0                         // 000000002B08: C0060200 00000000
	s_load_dwordx2 s[20:21], s[0:1], 0x10                      // 000000002B10: C0060500 00000010
	s_load_dwordx2 s[24:25], s[0:1], 0x20                      // 000000002B18: C0060600 00000020
	s_load_dwordx2 s[50:51], s[0:1], 0x30                      // 000000002B20: C0060C80 00000030
	s_load_dwordx2 s[12:13], s[0:1], 0x40                      // 000000002B28: C0060300 00000040
	s_load_dwordx2 s[28:29], s[0:1], 0x50                      // 000000002B30: C0060700 00000050
	s_load_dwordx2 s[32:33], s[0:1], 0x60                      // 000000002B38: C0060800 00000060
	s_load_dwordx2 s[16:17], s[0:1], 0x70                      // 000000002B40: C0060400 00000070
	s_load_dwordx2 s[36:37], s[0:1], 0x80                      // 000000002B48: C0060900 00000080
	s_load_dwordx2 s[44:45], s[0:1], 0x90                      // 000000002B50: C0060B00 00000090
	s_load_dwordx2 s[40:41], s[0:1], 0xa0                      // 000000002B58: C0060A00 000000A0
	s_load_dwordx2 s[46:47], s[0:1], 0xb0                      // 000000002B60: C0060B80 000000B0
	s_load_dword s64, s[0:1], 0xc0                             // 000000002B68: C0021000 000000C0
	s_load_dword s65, s[0:1], 0xd0                             // 000000002B70: C0021040 000000D0
	s_load_dword s66, s[0:1], 0xe0                             // 000000002B78: C0021080 000000E0
	s_load_dword s67, s[0:1], 0xf0                             // 000000002B80: C00210C0 000000F0
	s_load_dword s68, s[0:1], 0x100                            // 000000002B88: C0021100 00000100
	s_load_dword s69, s[0:1], 0x110                            // 000000002B90: C0021140 00000110
	s_load_dword s70, s[0:1], 0x120                            // 000000002B98: C0021180 00000120
	s_load_dword s71, s[0:1], 0x130                            // 000000002BA0: C00211C0 00000130
	s_load_dword s72, s[0:1], 0x140                            // 000000002BA8: C0021200 00000140
	s_load_dword s73, s[0:1], 0x150                            // 000000002BB0: C0021240 00000150
	s_load_dword s74, s[0:1], 0x160                            // 000000002BB8: C0021280 00000160
	s_load_dword s75, s[0:1], 0x170                            // 000000002BC0: C00212C0 00000170
	s_load_dword s76, s[0:1], 0x180                            // 000000002BC8: C0021300 00000180
	v_lshrrev_b32_e32 v1, 10, v0                               // 000000002BD0: 2002008A
	v_lshrrev_b32_e32 v2, 10, v1                               // 000000002BD4: 2004028A
	v_and_b32_e32 v2, 0x3ff, v2                                // 000000002BD8: 260404FF 000003FF
	v_and_b32_e32 v1, 0x3ff, v1                                // 000000002BE0: 260202FF 000003FF
	v_and_b32_e32 v0, 0x3ff, v0                                // 000000002BE8: 260000FF 000003FF
	v_lshrrev_b32_e32 v3, 6, v0                                // 000000002BF0: 20060086
	v_and_b32_e32 v0, 63, v0                                   // 000000002BF4: 260000BF
	s_mov_b32 s2, s2                                           // 000000002BF8: BE820002
	s_mov_b32 s3, s3                                           // 000000002BFC: BE830003
	s_mov_b32 s4, s4                                           // 000000002C00: BE840004
	v_readfirstlane_b32 s7, v3                                 // 000000002C04: 7E0E0503
	s_waitcnt lgkmcnt(0)                                       // 000000002C08: BF8CC07F
	s_and_b32 s51, s51, 0xffff                                 // 000000002C0C: 8633FF33 0000FFFF
	s_load_dword s50, s[50:51], 0x0                            // 000000002C14: C0020C99 00000000
	s_and_b32 s45, s45, 0xffff                                 // 000000002C1C: 862DFF2D 0000FFFF
	s_and_b32 s47, s47, 0xffff                                 // 000000002C24: 862FFF2F 0000FFFF
	s_and_b32 s9, s9, 0xffff                                   // 000000002C2C: 8609FF09 0000FFFF
	s_mul_i32 s60, s66, s68                                    // 000000002C34: 923C4442
	s_mul_i32 s61, s66, 4                                      // 000000002C38: 923D8442
	s_mov_b32 s22, s60                                         // 000000002C3C: BE96003C
	s_mov_b32 s26, 0x80000000                                  // 000000002C40: BE9A00FF 80000000
	s_mov_b32 s14, 0x80000000                                  // 000000002C48: BE8E00FF 80000000
	s_mov_b32 s42, 0x80000000                                  // 000000002C50: BEAA00FF 80000000
	s_mov_b32 s30, s61                                         // 000000002C58: BE9E003D
	s_mov_b32 s34, 0x300                                       // 000000002C5C: BEA200FF 00000300
	s_mov_b32 s38, 0x300                                       // 000000002C64: BEA600FF 00000300
	s_mov_b32 s18, 0x80000000                                  // 000000002C6C: BE9200FF 80000000
	s_mov_b32 s23, 0x20000                                     // 000000002C74: BE9700FF 00020000
	s_mov_b32 s27, 0x20000                                     // 000000002C7C: BE9B00FF 00020000
	s_mov_b32 s15, 0x20000                                     // 000000002C84: BE8F00FF 00020000
	s_mov_b32 s43, 0x20000                                     // 000000002C8C: BEAB00FF 00020000
	s_mov_b32 s31, 0x20000                                     // 000000002C94: BE9F00FF 00020000
	s_mov_b32 s35, 0x20000                                     // 000000002C9C: BEA300FF 00020000
	s_mov_b32 s39, 0x20000                                     // 000000002CA4: BEA700FF 00020000
	s_mov_b32 s19, 0x20000                                     // 000000002CAC: BE9300FF 00020000
	s_and_b32 s21, s21, 0xffff                                 // 000000002CB4: 8615FF15 0000FFFF
	s_and_b32 s25, s25, 0xffff                                 // 000000002CBC: 8619FF19 0000FFFF
	s_and_b32 s13, s13, 0xffff                                 // 000000002CC4: 860DFF0D 0000FFFF
	s_and_b32 s41, s41, 0xffff                                 // 000000002CCC: 8629FF29 0000FFFF
	s_and_b32 s29, s29, 0xffff                                 // 000000002CD4: 861DFF1D 0000FFFF
	s_and_b32 s33, s33, 0xffff                                 // 000000002CDC: 8621FF21 0000FFFF
	s_and_b32 s37, s37, 0xffff                                 // 000000002CE4: 8625FF25 0000FFFF
	s_and_b32 s17, s17, 0xffff                                 // 000000002CEC: 8611FF11 0000FFFF
	s_or_b32 s21, s21, 0x40000                                 // 000000002CF4: 8715FF15 00040000
	s_or_b32 s25, s25, 0x40000                                 // 000000002CFC: 8719FF19 00040000
	s_or_b32 s13, s13, 0x40000                                 // 000000002D04: 870DFF0D 00040000
	s_or_b32 s41, s41, 0x40000                                 // 000000002D0C: 8729FF29 00040000
	s_or_b32 s29, s29, 0x40000                                 // 000000002D14: 871DFF1D 00040000
	s_or_b32 s33, s33, 0x40000                                 // 000000002D1C: 8721FF21 00040000
	s_or_b32 s37, s37, 0x40000                                 // 000000002D24: 8725FF25 00040000
	s_or_b32 s17, s17, 0x40000                                 // 000000002D2C: 8711FF11 00040000
	v_accvgpr_write_b32 a95, 0                                 // 000000002D34: D3D9405F 18000080
	v_mov_b32_e32 v215, 0                                      // 000000002D3C: 7FAE0280
	s_waitcnt lgkmcnt(0)                                       // 000000002D40: BF8CC07F
	s_mul_i32 s60, s3, 32                                      // 000000002D44: 923CA003
	s_cmp_lt_i32 s60, s50                                      // 000000002D48: BF04323C
	s_cbranch_scc0 label_1788                                  // 000000002D4C: BF8416F4
	s_mov_b32 s80, 0                                           // 000000002D50: BED00080
	s_mov_b32 s81, s64                                         // 000000002D54: BED10040
	s_mul_i32 s60, s3, 4                                       // 000000002D58: 923C8403
	s_add_u32 s46, s60, s46                                    // 000000002D5C: 802E2E3C
	s_addc_u32 s47, 0, s47                                     // 000000002D60: 822F2F80
	s_load_dword s5, s[46:47], 0x0                             // 000000002D64: C0020157 00000000
	s_mul_i32 s60, s3, 32                                      // 000000002D6C: 923CA003
	s_mul_i32 s60, 4, s60                                      // 000000002D70: 923C3C84
	v_and_b32_e32 v44, 15, v0                                  // 000000002D74: 2658008F
	v_lshlrev_b32_e32 v44, 2, v44                              // 000000002D78: 24585882
	v_add_u32_e32 v44, s60, v44                                // 000000002D7C: 6858583C
	v_mov_b32_e32 v45, 0                                       // 000000002D80: 7E5A0280
	global_load_dword v6, v44, s[44:45]                        // 000000002D84: DC508000 062C002C
	v_add_u32_e32 v44, 64, v44                                 // 000000002D8C: 685858C0
	global_load_dword v7, v44, s[44:45]                        // 000000002D90: DC508000 072C002C
	s_mul_i32 s60, s3, 32                                      // 000000002D98: 923CA003
	s_add_u32 s60, s7, s60                                     // 000000002D9C: 803C3C07
	s_mul_i32 s60, 4, s60                                      // 000000002DA0: 923C3C84
	s_add_u32 s44, s60, s44                                    // 000000002DA4: 802C2C3C
	s_addc_u32 s45, 0, s45                                     // 000000002DA8: 822D2D80
	s_load_dword s82, s[44:45], 0x0                            // 000000002DAC: C0021496 00000000
	s_load_dword s83, s[44:45], 0x10                           // 000000002DB4: C00214D6 00000010
	s_load_dword s84, s[44:45], 0x20                           // 000000002DBC: C0021516 00000020
	s_load_dword s85, s[44:45], 0x30                           // 000000002DC4: C0021556 00000030
	s_load_dword s86, s[44:45], 0x40                           // 000000002DCC: C0021596 00000040
	s_load_dword s87, s[44:45], 0x50                           // 000000002DD4: C00215D6 00000050
	s_load_dword s88, s[44:45], 0x60                           // 000000002DDC: C0021616 00000060
	s_load_dword s89, s[44:45], 0x70                           // 000000002DE4: C0021656 00000070
	s_waitcnt lgkmcnt(0)                                       // 000000002DEC: BF8CC07F
	v_lshlrev_b32_e32 v44, 2, v0                               // 000000002DF0: 24580082
	s_and_b32 s82, s82, 0xffffff                               // 000000002DF4: 8652FF52 00FFFFFF
	s_mul_i32 s60, s82, s68                                    // 000000002DFC: 923C4452
	v_add_u32_e64 v24, v44, s60                                // 000000002E00: D1340018 0000792C
	s_and_b32 s83, s83, 0xffffff                               // 000000002E08: 8653FF53 00FFFFFF
	s_mul_i32 s60, s83, s68                                    // 000000002E10: 923C4453
	v_add_u32_e64 v25, v44, s60                                // 000000002E14: D1340019 0000792C
	s_and_b32 s84, s84, 0xffffff                               // 000000002E1C: 8654FF54 00FFFFFF
	s_mul_i32 s60, s84, s68                                    // 000000002E24: 923C4454
	v_add_u32_e64 v26, v44, s60                                // 000000002E28: D134001A 0000792C
	s_and_b32 s85, s85, 0xffffff                               // 000000002E30: 8655FF55 00FFFFFF
	s_mul_i32 s60, s85, s68                                    // 000000002E38: 923C4455
	v_add_u32_e64 v27, v44, s60                                // 000000002E3C: D134001B 0000792C
	s_and_b32 s86, s86, 0xffffff                               // 000000002E44: 8656FF56 00FFFFFF
	s_mul_i32 s60, s86, s68                                    // 000000002E4C: 923C4456
	v_add_u32_e64 v28, v44, s60                                // 000000002E50: D134001C 0000792C
	s_and_b32 s87, s87, 0xffffff                               // 000000002E58: 8657FF57 00FFFFFF
	s_mul_i32 s60, s87, s68                                    // 000000002E60: 923C4457
	v_add_u32_e64 v29, v44, s60                                // 000000002E64: D134001D 0000792C
	s_and_b32 s88, s88, 0xffffff                               // 000000002E6C: 8658FF58 00FFFFFF
	s_mul_i32 s60, s88, s68                                    // 000000002E74: 923C4458
	v_add_u32_e64 v30, v44, s60                                // 000000002E78: D134001E 0000792C
	s_and_b32 s89, s89, 0xffffff                               // 000000002E80: 8659FF59 00FFFFFF
	s_mul_i32 s60, s89, s68                                    // 000000002E88: 923C4459
	v_add_u32_e64 v31, v44, s60                                // 000000002E8C: D134001F 0000792C
	v_lshlrev_b32_e32 v44, 2, v0                               // 000000002E94: 24580082
	s_mul_i32 s60, s82, s71                                    // 000000002E98: 923C4752
	v_add_u32_e64 v80, v44, s60                                // 000000002E9C: D1340050 0000792C
	v_mov_b32_e32 v81, 0                                       // 000000002EA4: 7EA20280
	s_mul_i32 s60, s83, s71                                    // 000000002EA8: 923C4753
	v_add_u32_e64 v82, v44, s60                                // 000000002EAC: D1340052 0000792C
	v_mov_b32_e32 v83, 0                                       // 000000002EB4: 7EA60280
	s_mul_i32 s60, s84, s71                                    // 000000002EB8: 923C4754
	v_add_u32_e64 v84, v44, s60                                // 000000002EBC: D1340054 0000792C
	v_mov_b32_e32 v85, 0                                       // 000000002EC4: 7EAA0280
	s_mul_i32 s60, s85, s71                                    // 000000002EC8: 923C4755
	v_add_u32_e64 v86, v44, s60                                // 000000002ECC: D1340056 0000792C
	v_mov_b32_e32 v87, 0                                       // 000000002ED4: 7EAE0280
	s_mul_i32 s60, s86, s71                                    // 000000002ED8: 923C4756
	v_add_u32_e64 v88, v44, s60                                // 000000002EDC: D1340058 0000792C
	v_mov_b32_e32 v89, 0                                       // 000000002EE4: 7EB20280
	s_mul_i32 s60, s87, s71                                    // 000000002EE8: 923C4757
	v_add_u32_e64 v90, v44, s60                                // 000000002EEC: D134005A 0000792C
	v_mov_b32_e32 v91, 0                                       // 000000002EF4: 7EB60280
	s_mul_i32 s60, s88, s71                                    // 000000002EF8: 923C4758
	v_add_u32_e64 v92, v44, s60                                // 000000002EFC: D134005C 0000792C
	v_mov_b32_e32 v93, 0                                       // 000000002F04: 7EBA0280
	s_mul_i32 s60, s89, s71                                    // 000000002F08: 923C4759
	v_add_u32_e64 v94, v44, s60                                // 000000002F0C: D134005E 0000792C
	v_mov_b32_e32 v95, 0                                       // 000000002F14: 7EBE0280
	s_mul_i32 s60, s7, 0x820                                   // 000000002F18: 923CFF07 00000820
	s_add_u32 s50, 0, s60                                      // 000000002F20: 80323C80
	s_add_u32 s51, 0x2080, s50                                 // 000000002F24: 803332FF 00002080
	v_lshrrev_b32_e32 v44, 4, v0                               // 000000002F2C: 20580084
	v_lshlrev_b32_e32 v45, 2, v44                              // 000000002F30: 245A5882
	v_and_b32_e32 v44, 15, v0                                  // 000000002F34: 2658008F
	v_lshrrev_b32_e32 v46, 2, v44                              // 000000002F38: 205C5882
	v_lshlrev_b32_e32 v46, 6, v46                              // 000000002F3C: 245C5C86
	v_add_u32_e32 v45, v46, v45                                // 000000002F40: 685A5B2E
	v_and_b32_e32 v44, 3, v0                                   // 000000002F44: 26580083
	v_mul_i32_i24_e32 v46, 0x208, v44                          // 000000002F48: 0C5C58FF 00000208
	v_add_u32_e32 v45, v46, v45                                // 000000002F50: 685A5B2E
	v_lshlrev_b32_e32 v2, 2, v45                               // 000000002F54: 24045A82
	s_mul_i32 s60, s2, 0xc0                                    // 000000002F58: 923CFF02 000000C0
	s_mul_i32 s60, s60, s69                                    // 000000002F60: 923C453C
	s_mul_i32 s61, s5, s72                                     // 000000002F64: 923D4805
	s_add_u32 s60, s61, s60                                    // 000000002F68: 803C3C3D
	s_add_u32 s24, s60, s24                                    // 000000002F6C: 8018183C
	s_addc_u32 s25, 0, s25                                     // 000000002F70: 82191980
	s_mul_i32 s60, s7, 16                                      // 000000002F74: 923C9007
	s_mul_i32 s60, s60, s69                                    // 000000002F78: 923C453C
	v_lshlrev_b32_e32 v32, 4, v0                               // 000000002F7C: 24400084
	v_add_u32_e32 v32, s60, v32                                // 000000002F80: 6840403C
	s_mul_i32 s60, 64, s69                                     // 000000002F84: 923C45C0
	v_add_u32_e32 v33, s60, v32                                // 000000002F88: 6842403C
	v_add_u32_e32 v34, s60, v33                                // 000000002F8C: 6844423C
	s_mov_b32 s92, s24                                         // 000000002F90: BEDC0018
	s_mov_b32 s93, s25                                         // 000000002F94: BEDD0019
	s_mov_b32 s94, s26                                         // 000000002F98: BEDE001A
	s_mov_b32 s95, s27                                         // 000000002F9C: BEDF001B
	s_mul_i32 s60, s69, s65                                    // 000000002FA0: 923C4145
	s_add_u32 s92, s60, s92                                    // 000000002FA4: 805C5C3C
	s_addc_u32 s93, 0, s93                                     // 000000002FA8: 825D5D80
	s_mul_i32 s60, s2, 0xc00                                   // 000000002FAC: 923CFF02 00000C00
	s_mul_i32 s61, s5, s73                                     // 000000002FB4: 923D4905
	s_add_u32 s60, s61, s60                                    // 000000002FB8: 803C3C3D
	s_add_u32 s12, s60, s12                                    // 000000002FBC: 800C0C3C
	s_addc_u32 s13, 0, s13                                     // 000000002FC0: 820D0D80
	s_mul_i32 s60, s7, 16                                      // 000000002FC4: 923C9007
	s_mul_i32 s60, s60, s70                                    // 000000002FC8: 923C463C
	v_lshlrev_b32_e32 v35, 4, v0                               // 000000002FCC: 24460084
	v_add_u32_e32 v35, s60, v35                                // 000000002FD0: 6846463C
	s_mul_i32 s60, 64, s70                                     // 000000002FD4: 923C46C0
	v_add_u32_e32 v36, s60, v35                                // 000000002FD8: 6848463C
	v_add_u32_e32 v37, s60, v36                                // 000000002FDC: 684A483C
	v_add_u32_e32 v38, s60, v37                                // 000000002FE0: 684C4A3C
	s_mul_i32 s60, s70, 0x100                                  // 000000002FE4: 923CFF46 00000100
	s_mov_b32 s78, 0x400                                       // 000000002FEC: BECE00FF 00000400
	s_mul_i32 s61, s78, 2                                      // 000000002FF4: 923D824E
	s_sub_u32 s56, s60, s61                                    // 000000002FF8: 80B83D3C
	s_mul_i32 s60, s3, 32                                      // 000000002FFC: 923CA003
	s_mul_i32 s60, 4, s60                                      // 000000003000: 923C3C84
	s_add_u32 s40, s60, s40                                    // 000000003004: 8028283C
	s_addc_u32 s41, 0, s41                                     // 000000003008: 82292980
	v_and_b32_e32 v44, 15, v0                                  // 00000000300C: 2658008F
	v_lshlrev_b32_e32 v8, 2, v44                               // 000000003010: 24105882
	v_add_u32_e32 v9, 64, v8                                   // 000000003014: 681210C0
	v_lshrrev_b32_e32 v44, 4, v0                               // 000000003018: 20580084
	v_lshlrev_b32_e32 v45, 2, v44                              // 00000000301C: 245A5882
	v_and_b32_e32 v44, 15, v0                                  // 000000003020: 2658008F
	v_lshrrev_b32_e32 v46, 2, v44                              // 000000003024: 205C5882
	v_lshlrev_b32_e32 v46, 6, v46                              // 000000003028: 245C5C86
	v_add_u32_e32 v45, v46, v45                                // 00000000302C: 685A5B2E
	v_and_b32_e32 v44, 3, v0                                   // 000000003030: 26580083
	v_add_u32_e32 v45, v44, v45                                // 000000003034: 685A5B2C
	v_lshlrev_b32_e32 v10, 2, v45                              // 000000003038: 24145A82
	v_add_u32_e32 v11, 0x400, v10                              // 00000000303C: 681614FF 00000400
	s_mul_i32 s60, s7, 16                                      // 000000003044: 923C9007
	s_mul_i32 s60, s60, 4                                      // 000000003048: 923C843C
	v_add_u32_e32 v10, s60, v10                                // 00000000304C: 6814143C
	v_add_u32_e32 v11, s60, v11                                // 000000003050: 6816163C
	v_mov_b32_e32 v5, v10                                      // 000000003054: 7E0A030A
	s_mul_i32 s60, s2, 0xc0                                    // 000000003058: 923CFF02 000000C0
	s_mul_i32 s60, s60, 4                                      // 000000003060: 923C843C
	s_mul_i32 s61, s5, s74                                     // 000000003064: 923D4A05
	s_add_u32 s61, s61, s60                                    // 000000003068: 803D3C3D
	s_mul_i32 s62, s5, s76                                     // 00000000306C: 923E4C05
	s_add_u32 s62, s62, s60                                    // 000000003070: 803E3C3E
	s_add_u32 s32, s61, s32                                    // 000000003074: 8020203D
	s_addc_u32 s33, 0, s33                                     // 000000003078: 82212180
	s_add_u32 s36, s62, s36                                    // 00000000307C: 8024243E
	s_addc_u32 s37, 0, s37                                     // 000000003080: 82252580
	s_mul_i32 s60, s5, s75                                     // 000000003084: 923C4B05
	s_add_u32 s16, s60, s16                                    // 000000003088: 8010103C
	s_addc_u32 s17, 0, s17                                     // 00000000308C: 82111180
	s_mov_b32 s57, 0x100                                       // 000000003090: BEB900FF 00000100
	s_mov_b32 s58, 0x1000                                      // 000000003098: BEBA00FF 00001000
	s_mov_b32 s79, 0x400                                       // 0000000030A0: BECF00FF 00000400
	s_mov_b32 s59, 0x200                                       // 0000000030A8: BEBB00FF 00000200
	s_mov_b32 s90, s58                                         // 0000000030B0: BEDA003A
	s_mov_b32 s52, 0x7060302                                   // 0000000030B4: BEB400FF 07060302
	s_mov_b32 s53, 0x400                                       // 0000000030BC: BEB500FF 00000400
	s_mov_b32 s54, 0x40100                                     // 0000000030C4: BEB600FF 00040100
	s_mov_b32 s55, 0x4020100                                   // 0000000030CC: BEB700FF 04020100
	s_mov_b32 s6, 0x3fb8aa3b                                   // 0000000030D4: BE8600FF 3FB8AA3B
	s_mov_b32 s77, 0xbd92220c                                  // 0000000030DC: BECD00FF BD92220C
	s_mov_b32 m0, s50                                          // 0000000030E4: BEFC0032
	v_mov_b32_e32 v1, 0xbfcc4231                               // 0000000030E8: 7E0202FF BFCC4231
	v_mov_b32_e32 v40, 0xffff0000                              // 0000000030F0: 7E5002FF FFFF0000
	v_mov_b32_e32 v41, 0x7fff0000                              // 0000000030F8: 7E5202FF 7FFF0000
	v_mov_b32_e32 v42, 0x7fff                                  // 000000003100: 7E5402FF 00007FFF
	s_waitcnt vmcnt(0) expcnt(0) lgkmcnt(0)                    // 000000003108: BF8C0000
	v_and_b32_e32 v6, 0xffffff, v6                             // 00000000310C: 260C0CFF 00FFFFFF
	v_and_b32_e32 v7, 0xffffff, v7                             // 000000003114: 260E0EFF 00FFFFFF
	v_lshlrev_b32_e32 v6, 2, v6                                // 00000000311C: 240C0C82
	v_lshlrev_b32_e32 v7, 2, v7                                // 000000003120: 240E0E82
	buffer_load_dword v13, v6, s[28:31], 0 offen               // 000000003124: E0501000 80070D06
	buffer_load_dword v14, v7, s[28:31], 0 offen               // 00000000312C: E0501000 80070E07
	buffer_load_dword v15, v10, s[32:35], 0 offen              // 000000003134: E0501000 80080F0A
	buffer_load_dword v16, v11, s[32:35], 0 offen              // 00000000313C: E0501000 8008100B
	s_mul_i32 s60, 4, s65                                      // 000000003144: 923C4184
	s_add_u32 s32, s60, s32                                    // 000000003148: 8020203C
	s_addc_u32 s33, 0, s33                                     // 00000000314C: 82212180
	buffer_load_dword v43, v10, s[32:35], 0 offen              // 000000003150: E0501000 80082B0A
	buffer_load_dword v44, v11, s[32:35], 0 offen              // 000000003158: E0501000 80082C0B
	buffer_load_dword v17, v8, s[40:43], 0 offen               // 000000003160: E0501000 800A1108
	buffer_load_dword v18, v9, s[40:43], 0 offen               // 000000003168: E0501000 800A1209
	buffer_load_dword v24, s[20:23], 0 offen lds               // 000000003170: E0511000 80050018
	s_add_u32 m0, 0x100, s50                                   // 000000003178: 807C32FF 00000100
	buffer_load_dword v25, s[20:23], 0 offen lds               // 000000003180: E0511000 80050019
	s_add_u32 m0, 0x200, s50                                   // 000000003188: 807C32FF 00000200
	buffer_load_dword v26, s[20:23], 0 offen lds               // 000000003190: E0511000 8005001A
	s_add_u32 m0, 0x300, s50                                   // 000000003198: 807C32FF 00000300
	buffer_load_dword v27, s[20:23], 0 offen lds               // 0000000031A0: E0511000 8005001B
	s_add_u32 m0, 0x400, s50                                   // 0000000031A8: 807C32FF 00000400
	buffer_load_dword v28, s[20:23], 0 offen lds               // 0000000031B0: E0511000 8005001C
	s_add_u32 m0, 0x500, s50                                   // 0000000031B8: 807C32FF 00000500
	buffer_load_dword v29, s[20:23], 0 offen lds               // 0000000031C0: E0511000 8005001D
	s_add_u32 m0, 0x600, s50                                   // 0000000031C8: 807C32FF 00000600
	buffer_load_dword v30, s[20:23], 0 offen lds               // 0000000031D0: E0511000 8005001E
	s_add_u32 m0, 0x700, s50                                   // 0000000031D8: 807C32FF 00000700
	buffer_load_dword v31, s[20:23], 0 offen lds               // 0000000031E0: E0511000 8005001F
	s_add_u32 m0, 0, s51                                       // 0000000031E8: 807C3380
	s_add_u32 s20, s57, s20                                    // 0000000031EC: 80141439
	s_addc_u32 s21, 0, s21                                     // 0000000031F0: 82151580
	buffer_load_dwordx4 a[0:3], v32, s[24:27], 0 offen         // 0000000031F4: E05C1000 80860020
	buffer_load_dwordx4 a[4:7], v32, s[24:27], 0 offen offset:1024// 0000000031FC: E05C1400 80860420
	buffer_load_dwordx4 a[8:11], v32, s[24:27], 0 offen offset:2048// 000000003204: E05C1800 80860820
	buffer_load_dwordx4 a[12:15], v32, s[24:27], 0 offen offset:3072// 00000000320C: E05C1C00 80860C20
	buffer_load_dwordx4 a[16:19], v33, s[24:27], 0 offen       // 000000003214: E05C1000 80861021
	buffer_load_dwordx4 a[20:23], v33, s[24:27], 0 offen offset:1024// 00000000321C: E05C1400 80861421
	buffer_load_dwordx4 a[24:27], v33, s[24:27], 0 offen offset:2048// 000000003224: E05C1800 80861821
	buffer_load_dwordx4 a[28:31], v33, s[24:27], 0 offen offset:3072// 00000000322C: E05C1C00 80861C21
	buffer_load_dwordx4 a[32:35], v34, s[24:27], 0 offen       // 000000003234: E05C1000 80862022
	buffer_load_dwordx4 a[36:39], v34, s[24:27], 0 offen offset:1024// 00000000323C: E05C1400 80862422
	buffer_load_dwordx4 a[40:43], v34, s[24:27], 0 offen offset:2048// 000000003244: E05C1800 80862822
	buffer_load_dwordx4 a[44:47], v34, s[24:27], 0 offen offset:3072// 00000000324C: E05C1C00 80862C22
	s_add_u32 s24, s58, s24                                    // 000000003254: 8018183A
	s_addc_u32 s25, 0, s25                                     // 000000003258: 82191980
	v_mov_b32_e32 v128, 0                                      // 00000000325C: 7F000280
	v_mov_b32_e32 v64, 0                                       // 000000003260: 7E800280
	v_mov_b32_e32 v129, 0                                      // 000000003264: 7F020280
	v_mov_b32_e32 v65, 0                                       // 000000003268: 7E820280
	v_mov_b32_e32 v130, 0                                      // 00000000326C: 7F040280
	v_mov_b32_e32 v66, 0                                       // 000000003270: 7E840280
	v_mov_b32_e32 v131, 0                                      // 000000003274: 7F060280
	v_mov_b32_e32 v67, 0                                       // 000000003278: 7E860280
	v_mov_b32_e32 v132, 0                                      // 00000000327C: 7F080280
	v_mov_b32_e32 v68, 0                                       // 000000003280: 7E880280
	v_mov_b32_e32 v133, 0                                      // 000000003284: 7F0A0280
	v_mov_b32_e32 v69, 0                                       // 000000003288: 7E8A0280
	v_mov_b32_e32 v134, 0                                      // 00000000328C: 7F0C0280
	v_mov_b32_e32 v70, 0                                       // 000000003290: 7E8C0280
	v_mov_b32_e32 v135, 0                                      // 000000003294: 7F0E0280
	v_mov_b32_e32 v71, 0                                       // 000000003298: 7E8E0280
	v_mov_b32_e32 v136, 0                                      // 00000000329C: 7F100280
	v_mov_b32_e32 v72, 0                                       // 0000000032A0: 7E900280
	v_mov_b32_e32 v137, 0                                      // 0000000032A4: 7F120280
	v_mov_b32_e32 v73, 0                                       // 0000000032A8: 7E920280
	v_mov_b32_e32 v138, 0                                      // 0000000032AC: 7F140280
	v_mov_b32_e32 v74, 0                                       // 0000000032B0: 7E940280
	v_mov_b32_e32 v139, 0                                      // 0000000032B4: 7F160280
	v_mov_b32_e32 v75, 0                                       // 0000000032B8: 7E960280
	v_mov_b32_e32 v140, 0                                      // 0000000032BC: 7F180280
	v_mov_b32_e32 v76, 0                                       // 0000000032C0: 7E980280
	v_mov_b32_e32 v141, 0                                      // 0000000032C4: 7F1A0280
	v_mov_b32_e32 v77, 0                                       // 0000000032C8: 7E9A0280
	v_mov_b32_e32 v142, 0                                      // 0000000032CC: 7F1C0280
	v_mov_b32_e32 v78, 0                                       // 0000000032D0: 7E9C0280
	v_mov_b32_e32 v143, 0                                      // 0000000032D4: 7F1E0280
	v_mov_b32_e32 v79, 0                                       // 0000000032D8: 7E9E0280
	v_mov_b32_e32 v144, 0                                      // 0000000032DC: 7F200280
	v_mov_b32_e32 v80, 0                                       // 0000000032E0: 7EA00280
	v_mov_b32_e32 v145, 0                                      // 0000000032E4: 7F220280
	v_mov_b32_e32 v81, 0                                       // 0000000032E8: 7EA20280
	v_mov_b32_e32 v146, 0                                      // 0000000032EC: 7F240280
	v_mov_b32_e32 v82, 0                                       // 0000000032F0: 7EA40280
	v_mov_b32_e32 v147, 0                                      // 0000000032F4: 7F260280
	v_mov_b32_e32 v83, 0                                       // 0000000032F8: 7EA60280
	v_mov_b32_e32 v148, 0                                      // 0000000032FC: 7F280280
	v_mov_b32_e32 v84, 0                                       // 000000003300: 7EA80280
	v_mov_b32_e32 v149, 0                                      // 000000003304: 7F2A0280
	v_mov_b32_e32 v85, 0                                       // 000000003308: 7EAA0280
	v_mov_b32_e32 v150, 0                                      // 00000000330C: 7F2C0280
	v_mov_b32_e32 v86, 0                                       // 000000003310: 7EAC0280
	v_mov_b32_e32 v151, 0                                      // 000000003314: 7F2E0280
	v_mov_b32_e32 v87, 0                                       // 000000003318: 7EAE0280
	v_lshrrev_b32_e32 v44, 4, v0                               // 00000000331C: 20580084
	v_mul_i32_i24_e32 v3, 34, v44                              // 000000003320: 0C0658A2
	v_and_b32_e32 v44, 15, v0                                  // 000000003324: 2658008F
	v_mul_i32_i24_e32 v45, 2, v44                              // 000000003328: 0C5A5882
	v_add_u32_e32 v3, v45, v3                                  // 00000000332C: 6806072D
	s_mul_i32 s60, s7, 0x88                                    // 000000003330: 923CFF07 00000088
	v_add_u32_e32 v3, s60, v3                                  // 000000003338: 6806063C
	v_lshlrev_b32_e32 v3, 2, v3                                // 00000000333C: 24060682
	v_lshrrev_b32_e32 v44, 1, v0                               // 000000003340: 20580081
	v_mul_i32_i24_e32 v4, 34, v44                              // 000000003344: 0C0858A2
	v_and_b32_e32 v45, 1, v0                                   // 000000003348: 265A0081
	v_add_u32_e32 v4, v45, v4                                  // 00000000334C: 6808092D
	s_mul_i32 s60, s7, 2                                       // 000000003350: 923C8207
	v_add_u32_e32 v4, s60, v4                                  // 000000003354: 6808083C
	v_lshlrev_b32_e32 v4, 2, v4                                // 000000003358: 24080882
	s_waitcnt vmcnt(12)                                        // 00000000335C: BF8C0F7C
	s_barrier                                                  // 000000003360: BF8A0000
	ds_read_b128 v[152:155], v2                                // 000000003364: D9FE0000 98000002
	ds_read_b128 v[156:159], v2 offset:64                      // 00000000336C: D9FE0040 9C000002
	ds_read_b128 v[160:163], v2 offset:128                     // 000000003374: D9FE0080 A0000002
	ds_read_b128 v[164:167], v2 offset:192                     // 00000000337C: D9FE00C0 A4000002
	ds_read_b128 v[168:171], v2 offset:1024                    // 000000003384: D9FE0400 A8000002
	ds_read_b128 v[172:175], v2 offset:1088                    // 00000000338C: D9FE0440 AC000002
	ds_read_b128 v[176:179], v2 offset:1152                    // 000000003394: D9FE0480 B0000002
	ds_read_b128 v[180:183], v2 offset:1216                    // 00000000339C: D9FE04C0 B4000002
	s_cmp_lt_i32 s7, 2                                         // 0000000033A4: BF048207
	s_cbranch_scc0 label_0CDB                                  // 0000000033A8: BF840AB0

00000000000033ac <label_022B>:
	s_waitcnt vmcnt(4) lgkmcnt(0)                              // 0000000033AC: BF8C0074
	s_barrier                                                  // 0000000033B0: BF8A0000
	v_mfma_i32_16x16x32_i8 v[128:131], a[0:1], v[152:153], v[128:131]// 0000000033B4: D3D70080 0E033100
	v_mfma_i32_16x16x32_i8 v[128:131], a[2:3], v[154:155], v[128:131]// 0000000033BC: D3D70080 0E033502
	buffer_load_dwordx4 a[48:51], v32, s[92:95], 0 offen       // 0000000033C4: E05C1000 80973020
	v_mfma_i32_16x16x32_i8 v[128:131], a[4:5], v[156:157], v[128:131]// 0000000033CC: D3D70080 0E033904
	v_mfma_i32_16x16x32_i8 v[128:131], a[6:7], v[158:159], v[128:131]// 0000000033D4: D3D70080 0E033D06
	buffer_load_dword v24, s[20:23], 0 offen lds               // 0000000033DC: E0511000 80050018
	s_add_u32 m0, 0x100, s51                                   // 0000000033E4: 807C33FF 00000100
	v_mfma_i32_16x16x32_i8 v[128:131], a[8:9], v[160:161], v[128:131]// 0000000033EC: D3D70080 0E034108
	v_mfma_i32_16x16x32_i8 v[128:131], a[10:11], v[162:163], v[128:131]// 0000000033F4: D3D70080 0E03450A
	buffer_load_dwordx4 a[52:55], v32, s[92:95], 0 offen offset:1024// 0000000033FC: E05C1400 80973420
	v_mfma_i32_16x16x32_i8 v[128:131], a[12:13], v[164:165], v[128:131]// 000000003404: D3D70080 0E03490C
	v_mfma_i32_16x16x32_i8 v[128:131], a[14:15], v[166:167], v[128:131]// 00000000340C: D3D70080 0E034D0E
	buffer_load_dword v25, s[20:23], 0 offen lds               // 000000003414: E0511000 80050019
	s_add_u32 m0, 0x200, s51                                   // 00000000341C: 807C33FF 00000200
	v_mfma_i32_16x16x32_i8 v[132:135], a[0:1], v[168:169], v[132:135]// 000000003424: D3D70084 0E135100
	v_mfma_i32_16x16x32_i8 v[132:135], a[2:3], v[170:171], v[132:135]// 00000000342C: D3D70084 0E135502
	buffer_load_dwordx4 a[56:59], v32, s[92:95], 0 offen offset:2048// 000000003434: E05C1800 80973820
	v_mfma_i32_16x16x32_i8 v[132:135], a[4:5], v[172:173], v[132:135]// 00000000343C: D3D70084 0E135904
	v_mfma_i32_16x16x32_i8 v[132:135], a[6:7], v[174:175], v[132:135]// 000000003444: D3D70084 0E135D06
	buffer_load_dword v26, s[20:23], 0 offen lds               // 00000000344C: E0511000 8005001A
	s_add_u32 m0, 0x300, s51                                   // 000000003454: 807C33FF 00000300
	v_mfma_i32_16x16x32_i8 v[132:135], a[8:9], v[176:177], v[132:135]// 00000000345C: D3D70084 0E136108
	v_mfma_i32_16x16x32_i8 v[132:135], a[10:11], v[178:179], v[132:135]// 000000003464: D3D70084 0E13650A
	buffer_load_dwordx4 a[60:63], v32, s[92:95], 0 offen offset:3072// 00000000346C: E05C1C00 80973C20
	v_mfma_i32_16x16x32_i8 v[132:135], a[12:13], v[180:181], v[132:135]// 000000003474: D3D70084 0E13690C
	v_mfma_i32_16x16x32_i8 v[132:135], a[14:15], v[182:183], v[132:135]// 00000000347C: D3D70084 0E136D0E
	buffer_load_dword v27, s[20:23], 0 offen lds               // 000000003484: E0511000 8005001B
	s_add_u32 m0, 0x400, s51                                   // 00000000348C: 807C33FF 00000400
	v_mfma_i32_16x16x32_i8 v[136:139], a[16:17], v[152:153], v[136:139]// 000000003494: D3D70088 0E233110
	v_mfma_i32_16x16x32_i8 v[136:139], a[18:19], v[154:155], v[136:139]// 00000000349C: D3D70088 0E233512
	buffer_load_dwordx4 a[64:67], v33, s[92:95], 0 offen       // 0000000034A4: E05C1000 80974021
	v_mfma_i32_16x16x32_i8 v[136:139], a[20:21], v[156:157], v[136:139]// 0000000034AC: D3D70088 0E233914
	v_mfma_i32_16x16x32_i8 v[136:139], a[22:23], v[158:159], v[136:139]// 0000000034B4: D3D70088 0E233D16
	buffer_load_dword v28, s[20:23], 0 offen lds               // 0000000034BC: E0511000 8005001C
	s_add_u32 m0, 0x500, s51                                   // 0000000034C4: 807C33FF 00000500
	v_mfma_i32_16x16x32_i8 v[136:139], a[24:25], v[160:161], v[136:139]// 0000000034CC: D3D70088 0E234118
	v_mfma_i32_16x16x32_i8 v[136:139], a[26:27], v[162:163], v[136:139]// 0000000034D4: D3D70088 0E23451A
	buffer_load_dwordx4 a[68:71], v33, s[92:95], 0 offen offset:1024// 0000000034DC: E05C1400 80974421
	v_mfma_i32_16x16x32_i8 v[136:139], a[28:29], v[164:165], v[136:139]// 0000000034E4: D3D70088 0E23491C
	v_mfma_i32_16x16x32_i8 v[136:139], a[30:31], v[166:167], v[136:139]// 0000000034EC: D3D70088 0E234D1E
	buffer_load_dword v29, s[20:23], 0 offen lds               // 0000000034F4: E0511000 8005001D
	s_add_u32 m0, 0x600, s51                                   // 0000000034FC: 807C33FF 00000600
	v_mfma_i32_16x16x32_i8 v[140:143], a[16:17], v[168:169], v[140:143]// 000000003504: D3D7008C 0E335110
	v_mfma_i32_16x16x32_i8 v[140:143], a[18:19], v[170:171], v[140:143]// 00000000350C: D3D7008C 0E335512
	buffer_load_dwordx4 a[72:75], v33, s[92:95], 0 offen offset:2048// 000000003514: E05C1800 80974821
	v_mfma_i32_16x16x32_i8 v[140:143], a[20:21], v[172:173], v[140:143]// 00000000351C: D3D7008C 0E335914
	v_mfma_i32_16x16x32_i8 v[140:143], a[22:23], v[174:175], v[140:143]// 000000003524: D3D7008C 0E335D16
	buffer_load_dword v30, s[20:23], 0 offen lds               // 00000000352C: E0511000 8005001E
	s_add_u32 m0, 0x700, s51                                   // 000000003534: 807C33FF 00000700
	v_mfma_i32_16x16x32_i8 v[140:143], a[24:25], v[176:177], v[140:143]// 00000000353C: D3D7008C 0E336118
	v_mfma_i32_16x16x32_i8 v[140:143], a[26:27], v[178:179], v[140:143]// 000000003544: D3D7008C 0E33651A
	buffer_load_dwordx4 a[76:79], v33, s[92:95], 0 offen offset:3072// 00000000354C: E05C1C00 80974C21
	v_mfma_i32_16x16x32_i8 v[140:143], a[28:29], v[180:181], v[140:143]// 000000003554: D3D7008C 0E33691C
	v_mfma_i32_16x16x32_i8 v[140:143], a[30:31], v[182:183], v[140:143]// 00000000355C: D3D7008C 0E336D1E
	buffer_load_dword v31, s[20:23], 0 offen lds               // 000000003564: E0511000 8005001F
	s_add_u32 m0, 0, s50                                       // 00000000356C: 807C3280
	s_waitcnt vmcnt(16)                                        // 000000003570: BF8C4F70
	v_mfma_i32_16x16x32_i8 v[144:147], a[32:33], v[152:153], v[144:147]// 000000003574: D3D70090 0E433120
	v_mfma_i32_16x16x32_i8 v[144:147], a[34:35], v[154:155], v[144:147]// 00000000357C: D3D70090 0E433522
	buffer_load_dwordx4 a[80:83], v34, s[92:95], 0 offen       // 000000003584: E05C1000 80975022
	v_mfma_i32_16x16x32_i8 v[144:147], a[36:37], v[156:157], v[144:147]// 00000000358C: D3D70090 0E433924
	v_mfma_i32_16x16x32_i8 v[144:147], a[38:39], v[158:159], v[144:147]// 000000003594: D3D70090 0E433D26
	v_mfma_i32_16x16x32_i8 v[144:147], a[40:41], v[160:161], v[144:147]// 00000000359C: D3D70090 0E434128
	v_mfma_i32_16x16x32_i8 v[144:147], a[42:43], v[162:163], v[144:147]// 0000000035A4: D3D70090 0E43452A
	buffer_load_dwordx4 a[84:87], v34, s[92:95], 0 offen offset:1024// 0000000035AC: E05C1400 80975422
	v_mfma_i32_16x16x32_i8 v[144:147], a[44:45], v[164:165], v[144:147]// 0000000035B4: D3D70090 0E43492C
	v_mfma_i32_16x16x32_i8 v[144:147], a[46:47], v[166:167], v[144:147]// 0000000035BC: D3D70090 0E434D2E
	v_mfma_i32_16x16x32_i8 v[148:151], a[32:33], v[168:169], v[148:151]// 0000000035C4: D3D70094 0E535120
	v_mfma_i32_16x16x32_i8 v[148:151], a[34:35], v[170:171], v[148:151]// 0000000035CC: D3D70094 0E535522
	buffer_load_dwordx4 a[88:91], v34, s[92:95], 0 offen offset:2048// 0000000035D4: E05C1800 80975822
	v_mfma_i32_16x16x32_i8 v[148:151], a[36:37], v[172:173], v[148:151]// 0000000035DC: D3D70094 0E535924
	v_mfma_i32_16x16x32_i8 v[148:151], a[38:39], v[174:175], v[148:151]// 0000000035E4: D3D70094 0E535D26
	v_mfma_i32_16x16x32_i8 v[148:151], a[40:41], v[176:177], v[148:151]// 0000000035EC: D3D70094 0E536128
	v_mfma_i32_16x16x32_i8 v[148:151], a[42:43], v[178:179], v[148:151]// 0000000035F4: D3D70094 0E53652A
	buffer_load_dwordx4 a[92:95], v34, s[92:95], 0 offen offset:3072// 0000000035FC: E05C1C00 80975C22
	v_mfma_i32_16x16x32_i8 v[148:151], a[44:45], v[180:181], v[148:151]// 000000003604: D3D70094 0E53692C
	v_mfma_i32_16x16x32_i8 v[148:151], a[46:47], v[182:183], v[148:151]// 00000000360C: D3D70094 0E536D2E
	s_waitcnt vmcnt(4)                                         // 000000003614: BF8C0F74
	s_barrier                                                  // 000000003618: BF8A0000
	v_mfma_i32_16x16x32_i8 v[64:67], a[48:49], v[152:153], v[64:67]// 00000000361C: D3D70040 0D033130
	v_mfma_i32_16x16x32_i8 v[64:67], a[50:51], v[154:155], v[64:67]// 000000003624: D3D70040 0D033532
	buffer_load_dwordx4 a[0:3], v32, s[24:27], 0 offen         // 00000000362C: E05C1000 80860020
	v_mfma_i32_16x16x32_i8 v[64:67], a[52:53], v[156:157], v[64:67]// 000000003634: D3D70040 0D033934
	v_mfma_i32_16x16x32_i8 v[64:67], a[54:55], v[158:159], v[64:67]// 00000000363C: D3D70040 0D033D36
	v_mfma_i32_16x16x32_i8 v[64:67], a[56:57], v[160:161], v[64:67]// 000000003644: D3D70040 0D034138
	v_mfma_i32_16x16x32_i8 v[64:67], a[58:59], v[162:163], v[64:67]// 00000000364C: D3D70040 0D03453A
	buffer_load_dwordx4 a[4:7], v32, s[24:27], 0 offen offset:1024// 000000003654: E05C1400 80860420
	v_mfma_i32_16x16x32_i8 v[64:67], a[60:61], v[164:165], v[64:67]// 00000000365C: D3D70040 0D03493C
	v_mfma_i32_16x16x32_i8 v[64:67], a[62:63], v[166:167], v[64:67]// 000000003664: D3D70040 0D034D3E
	v_mfma_i32_16x16x32_i8 v[68:71], a[48:49], v[168:169], v[68:71]// 00000000366C: D3D70044 0D135130
	v_mfma_i32_16x16x32_i8 v[68:71], a[50:51], v[170:171], v[68:71]// 000000003674: D3D70044 0D135532
	buffer_load_dwordx4 a[8:11], v32, s[24:27], 0 offen offset:2048// 00000000367C: E05C1800 80860820
	v_mfma_i32_16x16x32_i8 v[68:71], a[52:53], v[172:173], v[68:71]// 000000003684: D3D70044 0D135934
	v_mfma_i32_16x16x32_i8 v[68:71], a[54:55], v[174:175], v[68:71]// 00000000368C: D3D70044 0D135D36
	v_mfma_i32_16x16x32_i8 v[68:71], a[56:57], v[176:177], v[68:71]// 000000003694: D3D70044 0D136138
	v_mfma_i32_16x16x32_i8 v[68:71], a[58:59], v[178:179], v[68:71]// 00000000369C: D3D70044 0D13653A
	buffer_load_dwordx4 a[12:15], v32, s[24:27], 0 offen offset:3072// 0000000036A4: E05C1C00 80860C20
	v_mfma_i32_16x16x32_i8 v[68:71], a[60:61], v[180:181], v[68:71]// 0000000036AC: D3D70044 0D13693C
	v_mfma_i32_16x16x32_i8 v[68:71], a[62:63], v[182:183], v[68:71]// 0000000036B4: D3D70044 0D136D3E
	v_mfma_i32_16x16x32_i8 v[72:75], a[64:65], v[152:153], v[72:75]// 0000000036BC: D3D70048 0D233140
	v_mfma_i32_16x16x32_i8 v[72:75], a[66:67], v[154:155], v[72:75]// 0000000036C4: D3D70048 0D233542
	buffer_load_dwordx4 a[16:19], v33, s[24:27], 0 offen       // 0000000036CC: E05C1000 80861021
	v_mfma_i32_16x16x32_i8 v[72:75], a[68:69], v[156:157], v[72:75]// 0000000036D4: D3D70048 0D233944
	v_mfma_i32_16x16x32_i8 v[72:75], a[70:71], v[158:159], v[72:75]// 0000000036DC: D3D70048 0D233D46
	ds_read_b128 v[184:187], v2 offset:8320                    // 0000000036E4: D9FE2080 B8000002
	v_mfma_i32_16x16x32_i8 v[72:75], a[72:73], v[160:161], v[72:75]// 0000000036EC: D3D70048 0D234148
	v_mfma_i32_16x16x32_i8 v[72:75], a[74:75], v[162:163], v[72:75]// 0000000036F4: D3D70048 0D23454A
	buffer_load_dwordx4 a[20:23], v33, s[24:27], 0 offen offset:1024// 0000000036FC: E05C1400 80861421
	v_mfma_i32_16x16x32_i8 v[72:75], a[76:77], v[164:165], v[72:75]// 000000003704: D3D70048 0D23494C
	v_mfma_i32_16x16x32_i8 v[72:75], a[78:79], v[166:167], v[72:75]// 00000000370C: D3D70048 0D234D4E
	ds_read_b128 v[188:191], v2 offset:8384                    // 000000003714: D9FE20C0 BC000002
	v_mfma_i32_16x16x32_i8 v[76:79], a[64:65], v[168:169], v[76:79]// 00000000371C: D3D7004C 0D335140
	v_mfma_i32_16x16x32_i8 v[76:79], a[66:67], v[170:171], v[76:79]// 000000003724: D3D7004C 0D335542
	buffer_load_dwordx4 a[24:27], v33, s[24:27], 0 offen offset:2048// 00000000372C: E05C1800 80861821
	v_mfma_i32_16x16x32_i8 v[76:79], a[68:69], v[172:173], v[76:79]// 000000003734: D3D7004C 0D335944
	v_mfma_i32_16x16x32_i8 v[76:79], a[70:71], v[174:175], v[76:79]// 00000000373C: D3D7004C 0D335D46
	ds_read_b128 v[192:195], v2 offset:8448                    // 000000003744: D9FE2100 C0000002
	v_mfma_i32_16x16x32_i8 v[76:79], a[72:73], v[176:177], v[76:79]// 00000000374C: D3D7004C 0D336148
	v_mfma_i32_16x16x32_i8 v[76:79], a[74:75], v[178:179], v[76:79]// 000000003754: D3D7004C 0D33654A
	buffer_load_dwordx4 a[28:31], v33, s[24:27], 0 offen offset:3072// 00000000375C: E05C1C00 80861C21
	v_mfma_i32_16x16x32_i8 v[76:79], a[76:77], v[180:181], v[76:79]// 000000003764: D3D7004C 0D33694C
	v_mfma_i32_16x16x32_i8 v[76:79], a[78:79], v[182:183], v[76:79]// 00000000376C: D3D7004C 0D336D4E
	ds_read_b128 v[196:199], v2 offset:8512                    // 000000003774: D9FE2140 C4000002
	s_waitcnt vmcnt(8)                                         // 00000000377C: BF8C0F78
	v_mfma_i32_16x16x32_i8 v[80:83], a[80:81], v[152:153], v[80:83]// 000000003780: D3D70050 0D433150
	v_mfma_i32_16x16x32_i8 v[80:83], a[82:83], v[154:155], v[80:83]// 000000003788: D3D70050 0D433552
	buffer_load_dwordx4 a[32:35], v34, s[24:27], 0 offen       // 000000003790: E05C1000 80862022
	v_mfma_i32_16x16x32_i8 v[80:83], a[84:85], v[156:157], v[80:83]// 000000003798: D3D70050 0D433954
	v_mfma_i32_16x16x32_i8 v[80:83], a[86:87], v[158:159], v[80:83]// 0000000037A0: D3D70050 0D433D56
	ds_read_b128 v[200:203], v2 offset:9344                    // 0000000037A8: D9FE2480 C8000002
	v_mfma_i32_16x16x32_i8 v[80:83], a[88:89], v[160:161], v[80:83]// 0000000037B0: D3D70050 0D434158
	v_mfma_i32_16x16x32_i8 v[80:83], a[90:91], v[162:163], v[80:83]// 0000000037B8: D3D70050 0D43455A
	buffer_load_dwordx4 a[36:39], v34, s[24:27], 0 offen offset:1024// 0000000037C0: E05C1400 80862422
	v_mfma_i32_16x16x32_i8 v[80:83], a[92:93], v[164:165], v[80:83]// 0000000037C8: D3D70050 0D43495C
	v_mfma_i32_16x16x32_i8 v[80:83], a[94:95], v[166:167], v[80:83]// 0000000037D0: D3D70050 0D434D5E
	ds_read_b128 v[204:207], v2 offset:9408                    // 0000000037D8: D9FE24C0 CC000002
	v_mfma_i32_16x16x32_i8 v[84:87], a[80:81], v[168:169], v[84:87]// 0000000037E0: D3D70054 0D535150
	v_mfma_i32_16x16x32_i8 v[84:87], a[82:83], v[170:171], v[84:87]// 0000000037E8: D3D70054 0D535552
	buffer_load_dwordx4 a[40:43], v34, s[24:27], 0 offen offset:2048// 0000000037F0: E05C1800 80862822
	v_mfma_i32_16x16x32_i8 v[84:87], a[84:85], v[172:173], v[84:87]// 0000000037F8: D3D70054 0D535954
	v_mfma_i32_16x16x32_i8 v[84:87], a[86:87], v[174:175], v[84:87]// 000000003800: D3D70054 0D535D56
	ds_read_b128 v[208:211], v2 offset:9472                    // 000000003808: D9FE2500 D0000002
	v_mfma_i32_16x16x32_i8 v[84:87], a[88:89], v[176:177], v[84:87]// 000000003810: D3D70054 0D536158
	v_mfma_i32_16x16x32_i8 v[84:87], a[90:91], v[178:179], v[84:87]// 000000003818: D3D70054 0D53655A
	buffer_load_dwordx4 a[44:47], v34, s[24:27], 0 offen offset:3072// 000000003820: E05C1C00 80862C22
	v_mfma_i32_16x16x32_i8 v[84:87], a[92:93], v[180:181], v[84:87]// 000000003828: D3D70054 0D53695C
	v_mfma_i32_16x16x32_i8 v[84:87], a[94:95], v[182:183], v[84:87]// 000000003830: D3D70054 0D536D5E
	ds_read_b128 v[212:215], v2 offset:9536                    // 000000003838: D9FE2540 D4000002
	s_add_u32 s60, 0x200, s80                                  // 000000003840: 803C50FF 00000200
	s_cmp_lt_u32 s60, s81                                      // 000000003848: BF0A513C
	s_cselect_b32 s57, s57, 0                                  // 00000000384C: 85398039
	s_add_u32 s60, 0x200, s80                                  // 000000003850: 803C50FF 00000200
	s_cmp_lt_u32 s60, s81                                      // 000000003858: BF0A513C
	s_cselect_b32 s58, s58, 0                                  // 00000000385C: 853A803A
	s_add_u32 s20, s57, s20                                    // 000000003860: 80141439
	s_addc_u32 s21, 0, s21                                     // 000000003864: 82151580
	s_add_u32 s24, s58, s24                                    // 000000003868: 8018183A
	s_addc_u32 s25, 0, s25                                     // 00000000386C: 82191980
	s_add_u32 s92, s90, s92                                    // 000000003870: 805C5C5A
	s_addc_u32 s93, 0, s93                                     // 000000003874: 825D5D80
	s_addk_i32 s80, 0x100                                      // 000000003878: B7500100
	s_cmp_lt_i32 s80, s81                                      // 00000000387C: BF045150
	s_cbranch_scc0 label_0498                                  // 000000003880: BF840137
	s_waitcnt vmcnt(4) lgkmcnt(0)                              // 000000003884: BF8C0074
	s_barrier                                                  // 000000003888: BF8A0000
	v_mfma_i32_16x16x32_i8 v[128:131], a[0:1], v[184:185], v[128:131]// 00000000388C: D3D70080 0E037100
	v_mfma_i32_16x16x32_i8 v[128:131], a[2:3], v[186:187], v[128:131]// 000000003894: D3D70080 0E037502
	buffer_load_dwordx4 a[48:51], v32, s[92:95], 0 offen       // 00000000389C: E05C1000 80973020
	v_mfma_i32_16x16x32_i8 v[128:131], a[4:5], v[188:189], v[128:131]// 0000000038A4: D3D70080 0E037904
	v_mfma_i32_16x16x32_i8 v[128:131], a[6:7], v[190:191], v[128:131]// 0000000038AC: D3D70080 0E037D06
	buffer_load_dword v24, s[20:23], 0 offen lds               // 0000000038B4: E0511000 80050018
	s_add_u32 m0, 0x100, s50                                   // 0000000038BC: 807C32FF 00000100
	v_mfma_i32_16x16x32_i8 v[128:131], a[8:9], v[192:193], v[128:131]// 0000000038C4: D3D70080 0E038108
	v_mfma_i32_16x16x32_i8 v[128:131], a[10:11], v[194:195], v[128:131]// 0000000038CC: D3D70080 0E03850A
	buffer_load_dwordx4 a[52:55], v32, s[92:95], 0 offen offset:1024// 0000000038D4: E05C1400 80973420
	v_mfma_i32_16x16x32_i8 v[128:131], a[12:13], v[196:197], v[128:131]// 0000000038DC: D3D70080 0E03890C
	v_mfma_i32_16x16x32_i8 v[128:131], a[14:15], v[198:199], v[128:131]// 0000000038E4: D3D70080 0E038D0E
	buffer_load_dword v25, s[20:23], 0 offen lds               // 0000000038EC: E0511000 80050019
	s_add_u32 m0, 0x200, s50                                   // 0000000038F4: 807C32FF 00000200
	v_mfma_i32_16x16x32_i8 v[132:135], a[0:1], v[200:201], v[132:135]// 0000000038FC: D3D70084 0E139100
	v_mfma_i32_16x16x32_i8 v[132:135], a[2:3], v[202:203], v[132:135]// 000000003904: D3D70084 0E139502
	buffer_load_dwordx4 a[56:59], v32, s[92:95], 0 offen offset:2048// 00000000390C: E05C1800 80973820
	v_mfma_i32_16x16x32_i8 v[132:135], a[4:5], v[204:205], v[132:135]// 000000003914: D3D70084 0E139904
	v_mfma_i32_16x16x32_i8 v[132:135], a[6:7], v[206:207], v[132:135]// 00000000391C: D3D70084 0E139D06
	buffer_load_dword v26, s[20:23], 0 offen lds               // 000000003924: E0511000 8005001A
	s_add_u32 m0, 0x300, s50                                   // 00000000392C: 807C32FF 00000300
	v_mfma_i32_16x16x32_i8 v[132:135], a[8:9], v[208:209], v[132:135]// 000000003934: D3D70084 0E13A108
	v_mfma_i32_16x16x32_i8 v[132:135], a[10:11], v[210:211], v[132:135]// 00000000393C: D3D70084 0E13A50A
	buffer_load_dwordx4 a[60:63], v32, s[92:95], 0 offen offset:3072// 000000003944: E05C1C00 80973C20
	v_mfma_i32_16x16x32_i8 v[132:135], a[12:13], v[212:213], v[132:135]// 00000000394C: D3D70084 0E13A90C
	v_mfma_i32_16x16x32_i8 v[132:135], a[14:15], v[214:215], v[132:135]// 000000003954: D3D70084 0E13AD0E
	buffer_load_dword v27, s[20:23], 0 offen lds               // 00000000395C: E0511000 8005001B
	s_add_u32 m0, 0x400, s50                                   // 000000003964: 807C32FF 00000400
	v_mfma_i32_16x16x32_i8 v[136:139], a[16:17], v[184:185], v[136:139]// 00000000396C: D3D70088 0E237110
	v_mfma_i32_16x16x32_i8 v[136:139], a[18:19], v[186:187], v[136:139]// 000000003974: D3D70088 0E237512
	buffer_load_dwordx4 a[64:67], v33, s[92:95], 0 offen       // 00000000397C: E05C1000 80974021
	v_mfma_i32_16x16x32_i8 v[136:139], a[20:21], v[188:189], v[136:139]// 000000003984: D3D70088 0E237914
	v_mfma_i32_16x16x32_i8 v[136:139], a[22:23], v[190:191], v[136:139]// 00000000398C: D3D70088 0E237D16
	buffer_load_dword v28, s[20:23], 0 offen lds               // 000000003994: E0511000 8005001C
	s_add_u32 m0, 0x500, s50                                   // 00000000399C: 807C32FF 00000500
	v_mfma_i32_16x16x32_i8 v[136:139], a[24:25], v[192:193], v[136:139]// 0000000039A4: D3D70088 0E238118
	v_mfma_i32_16x16x32_i8 v[136:139], a[26:27], v[194:195], v[136:139]// 0000000039AC: D3D70088 0E23851A
	buffer_load_dwordx4 a[68:71], v33, s[92:95], 0 offen offset:1024// 0000000039B4: E05C1400 80974421
	v_mfma_i32_16x16x32_i8 v[136:139], a[28:29], v[196:197], v[136:139]// 0000000039BC: D3D70088 0E23891C
	v_mfma_i32_16x16x32_i8 v[136:139], a[30:31], v[198:199], v[136:139]// 0000000039C4: D3D70088 0E238D1E
	buffer_load_dword v29, s[20:23], 0 offen lds               // 0000000039CC: E0511000 8005001D
	s_add_u32 m0, 0x600, s50                                   // 0000000039D4: 807C32FF 00000600
	v_mfma_i32_16x16x32_i8 v[140:143], a[16:17], v[200:201], v[140:143]// 0000000039DC: D3D7008C 0E339110
	v_mfma_i32_16x16x32_i8 v[140:143], a[18:19], v[202:203], v[140:143]// 0000000039E4: D3D7008C 0E339512
	buffer_load_dwordx4 a[72:75], v33, s[92:95], 0 offen offset:2048// 0000000039EC: E05C1800 80974821
	v_mfma_i32_16x16x32_i8 v[140:143], a[20:21], v[204:205], v[140:143]// 0000000039F4: D3D7008C 0E339914
	v_mfma_i32_16x16x32_i8 v[140:143], a[22:23], v[206:207], v[140:143]// 0000000039FC: D3D7008C 0E339D16
	buffer_load_dword v30, s[20:23], 0 offen lds               // 000000003A04: E0511000 8005001E
	s_add_u32 m0, 0x700, s50                                   // 000000003A0C: 807C32FF 00000700
	v_mfma_i32_16x16x32_i8 v[140:143], a[24:25], v[208:209], v[140:143]// 000000003A14: D3D7008C 0E33A118
	v_mfma_i32_16x16x32_i8 v[140:143], a[26:27], v[210:211], v[140:143]// 000000003A1C: D3D7008C 0E33A51A
	buffer_load_dwordx4 a[76:79], v33, s[92:95], 0 offen offset:3072// 000000003A24: E05C1C00 80974C21
	v_mfma_i32_16x16x32_i8 v[140:143], a[28:29], v[212:213], v[140:143]// 000000003A2C: D3D7008C 0E33A91C
	v_mfma_i32_16x16x32_i8 v[140:143], a[30:31], v[214:215], v[140:143]// 000000003A34: D3D7008C 0E33AD1E
	buffer_load_dword v31, s[20:23], 0 offen lds               // 000000003A3C: E0511000 8005001F
	s_add_u32 m0, 0, s51                                       // 000000003A44: 807C3380
	s_waitcnt vmcnt(16)                                        // 000000003A48: BF8C4F70
	v_mfma_i32_16x16x32_i8 v[144:147], a[32:33], v[184:185], v[144:147]// 000000003A4C: D3D70090 0E437120
	v_mfma_i32_16x16x32_i8 v[144:147], a[34:35], v[186:187], v[144:147]// 000000003A54: D3D70090 0E437522
	buffer_load_dwordx4 a[80:83], v34, s[92:95], 0 offen       // 000000003A5C: E05C1000 80975022
	v_mfma_i32_16x16x32_i8 v[144:147], a[36:37], v[188:189], v[144:147]// 000000003A64: D3D70090 0E437924
	v_mfma_i32_16x16x32_i8 v[144:147], a[38:39], v[190:191], v[144:147]// 000000003A6C: D3D70090 0E437D26
	v_mfma_i32_16x16x32_i8 v[144:147], a[40:41], v[192:193], v[144:147]// 000000003A74: D3D70090 0E438128
	v_mfma_i32_16x16x32_i8 v[144:147], a[42:43], v[194:195], v[144:147]// 000000003A7C: D3D70090 0E43852A
	buffer_load_dwordx4 a[84:87], v34, s[92:95], 0 offen offset:1024// 000000003A84: E05C1400 80975422
	v_mfma_i32_16x16x32_i8 v[144:147], a[44:45], v[196:197], v[144:147]// 000000003A8C: D3D70090 0E43892C
	v_mfma_i32_16x16x32_i8 v[144:147], a[46:47], v[198:199], v[144:147]// 000000003A94: D3D70090 0E438D2E
	v_mfma_i32_16x16x32_i8 v[148:151], a[32:33], v[200:201], v[148:151]// 000000003A9C: D3D70094 0E539120
	v_mfma_i32_16x16x32_i8 v[148:151], a[34:35], v[202:203], v[148:151]// 000000003AA4: D3D70094 0E539522
	buffer_load_dwordx4 a[88:91], v34, s[92:95], 0 offen offset:2048// 000000003AAC: E05C1800 80975822
	v_mfma_i32_16x16x32_i8 v[148:151], a[36:37], v[204:205], v[148:151]// 000000003AB4: D3D70094 0E539924
	v_mfma_i32_16x16x32_i8 v[148:151], a[38:39], v[206:207], v[148:151]// 000000003ABC: D3D70094 0E539D26
	v_mfma_i32_16x16x32_i8 v[148:151], a[40:41], v[208:209], v[148:151]// 000000003AC4: D3D70094 0E53A128
	v_mfma_i32_16x16x32_i8 v[148:151], a[42:43], v[210:211], v[148:151]// 000000003ACC: D3D70094 0E53A52A
	buffer_load_dwordx4 a[92:95], v34, s[92:95], 0 offen offset:3072// 000000003AD4: E05C1C00 80975C22
	v_mfma_i32_16x16x32_i8 v[148:151], a[44:45], v[212:213], v[148:151]// 000000003ADC: D3D70094 0E53A92C
	v_mfma_i32_16x16x32_i8 v[148:151], a[46:47], v[214:215], v[148:151]// 000000003AE4: D3D70094 0E53AD2E
	s_waitcnt vmcnt(4)                                         // 000000003AEC: BF8C0F74
	s_barrier                                                  // 000000003AF0: BF8A0000
	v_mfma_i32_16x16x32_i8 v[64:67], a[48:49], v[184:185], v[64:67]// 000000003AF4: D3D70040 0D037130
	v_mfma_i32_16x16x32_i8 v[64:67], a[50:51], v[186:187], v[64:67]// 000000003AFC: D3D70040 0D037532
	buffer_load_dwordx4 a[0:3], v32, s[24:27], 0 offen         // 000000003B04: E05C1000 80860020
	v_mfma_i32_16x16x32_i8 v[64:67], a[52:53], v[188:189], v[64:67]// 000000003B0C: D3D70040 0D037934
	v_mfma_i32_16x16x32_i8 v[64:67], a[54:55], v[190:191], v[64:67]// 000000003B14: D3D70040 0D037D36
	v_mfma_i32_16x16x32_i8 v[64:67], a[56:57], v[192:193], v[64:67]// 000000003B1C: D3D70040 0D038138
	v_mfma_i32_16x16x32_i8 v[64:67], a[58:59], v[194:195], v[64:67]// 000000003B24: D3D70040 0D03853A
	buffer_load_dwordx4 a[4:7], v32, s[24:27], 0 offen offset:1024// 000000003B2C: E05C1400 80860420
	v_mfma_i32_16x16x32_i8 v[64:67], a[60:61], v[196:197], v[64:67]// 000000003B34: D3D70040 0D03893C
	v_mfma_i32_16x16x32_i8 v[64:67], a[62:63], v[198:199], v[64:67]// 000000003B3C: D3D70040 0D038D3E
	v_mfma_i32_16x16x32_i8 v[68:71], a[48:49], v[200:201], v[68:71]// 000000003B44: D3D70044 0D139130
	v_mfma_i32_16x16x32_i8 v[68:71], a[50:51], v[202:203], v[68:71]// 000000003B4C: D3D70044 0D139532
	buffer_load_dwordx4 a[8:11], v32, s[24:27], 0 offen offset:2048// 000000003B54: E05C1800 80860820
	v_mfma_i32_16x16x32_i8 v[68:71], a[52:53], v[204:205], v[68:71]// 000000003B5C: D3D70044 0D139934
	v_mfma_i32_16x16x32_i8 v[68:71], a[54:55], v[206:207], v[68:71]// 000000003B64: D3D70044 0D139D36
	v_mfma_i32_16x16x32_i8 v[68:71], a[56:57], v[208:209], v[68:71]// 000000003B6C: D3D70044 0D13A138
	v_mfma_i32_16x16x32_i8 v[68:71], a[58:59], v[210:211], v[68:71]// 000000003B74: D3D70044 0D13A53A
	buffer_load_dwordx4 a[12:15], v32, s[24:27], 0 offen offset:3072// 000000003B7C: E05C1C00 80860C20
	v_mfma_i32_16x16x32_i8 v[68:71], a[60:61], v[212:213], v[68:71]// 000000003B84: D3D70044 0D13A93C
	v_mfma_i32_16x16x32_i8 v[68:71], a[62:63], v[214:215], v[68:71]// 000000003B8C: D3D70044 0D13AD3E
	v_mfma_i32_16x16x32_i8 v[72:75], a[64:65], v[184:185], v[72:75]// 000000003B94: D3D70048 0D237140
	v_mfma_i32_16x16x32_i8 v[72:75], a[66:67], v[186:187], v[72:75]// 000000003B9C: D3D70048 0D237542
	buffer_load_dwordx4 a[16:19], v33, s[24:27], 0 offen       // 000000003BA4: E05C1000 80861021
	v_mfma_i32_16x16x32_i8 v[72:75], a[68:69], v[188:189], v[72:75]// 000000003BAC: D3D70048 0D237944
	v_mfma_i32_16x16x32_i8 v[72:75], a[70:71], v[190:191], v[72:75]// 000000003BB4: D3D70048 0D237D46
	ds_read_b128 v[152:155], v2                                // 000000003BBC: D9FE0000 98000002
	v_mfma_i32_16x16x32_i8 v[72:75], a[72:73], v[192:193], v[72:75]// 000000003BC4: D3D70048 0D238148
	v_mfma_i32_16x16x32_i8 v[72:75], a[74:75], v[194:195], v[72:75]// 000000003BCC: D3D70048 0D23854A
	buffer_load_dwordx4 a[20:23], v33, s[24:27], 0 offen offset:1024// 000000003BD4: E05C1400 80861421
	v_mfma_i32_16x16x32_i8 v[72:75], a[76:77], v[196:197], v[72:75]// 000000003BDC: D3D70048 0D23894C
	v_mfma_i32_16x16x32_i8 v[72:75], a[78:79], v[198:199], v[72:75]// 000000003BE4: D3D70048 0D238D4E
	ds_read_b128 v[156:159], v2 offset:64                      // 000000003BEC: D9FE0040 9C000002
	v_mfma_i32_16x16x32_i8 v[76:79], a[64:65], v[200:201], v[76:79]// 000000003BF4: D3D7004C 0D339140
	v_mfma_i32_16x16x32_i8 v[76:79], a[66:67], v[202:203], v[76:79]// 000000003BFC: D3D7004C 0D339542
	buffer_load_dwordx4 a[24:27], v33, s[24:27], 0 offen offset:2048// 000000003C04: E05C1800 80861821
	v_mfma_i32_16x16x32_i8 v[76:79], a[68:69], v[204:205], v[76:79]// 000000003C0C: D3D7004C 0D339944
	v_mfma_i32_16x16x32_i8 v[76:79], a[70:71], v[206:207], v[76:79]// 000000003C14: D3D7004C 0D339D46
	ds_read_b128 v[160:163], v2 offset:128                     // 000000003C1C: D9FE0080 A0000002
	v_mfma_i32_16x16x32_i8 v[76:79], a[72:73], v[208:209], v[76:79]// 000000003C24: D3D7004C 0D33A148
	v_mfma_i32_16x16x32_i8 v[76:79], a[74:75], v[210:211], v[76:79]// 000000003C2C: D3D7004C 0D33A54A
	buffer_load_dwordx4 a[28:31], v33, s[24:27], 0 offen offset:3072// 000000003C34: E05C1C00 80861C21
	v_mfma_i32_16x16x32_i8 v[76:79], a[76:77], v[212:213], v[76:79]// 000000003C3C: D3D7004C 0D33A94C
	v_mfma_i32_16x16x32_i8 v[76:79], a[78:79], v[214:215], v[76:79]// 000000003C44: D3D7004C 0D33AD4E
	ds_read_b128 v[164:167], v2 offset:192                     // 000000003C4C: D9FE00C0 A4000002
	s_waitcnt vmcnt(8)                                         // 000000003C54: BF8C0F78
	v_mfma_i32_16x16x32_i8 v[80:83], a[80:81], v[184:185], v[80:83]// 000000003C58: D3D70050 0D437150
	v_mfma_i32_16x16x32_i8 v[80:83], a[82:83], v[186:187], v[80:83]// 000000003C60: D3D70050 0D437552
	buffer_load_dwordx4 a[32:35], v34, s[24:27], 0 offen       // 000000003C68: E05C1000 80862022
	v_mfma_i32_16x16x32_i8 v[80:83], a[84:85], v[188:189], v[80:83]// 000000003C70: D3D70050 0D437954
	v_mfma_i32_16x16x32_i8 v[80:83], a[86:87], v[190:191], v[80:83]// 000000003C78: D3D70050 0D437D56
	ds_read_b128 v[168:171], v2 offset:1024                    // 000000003C80: D9FE0400 A8000002
	v_mfma_i32_16x16x32_i8 v[80:83], a[88:89], v[192:193], v[80:83]// 000000003C88: D3D70050 0D438158
	v_mfma_i32_16x16x32_i8 v[80:83], a[90:91], v[194:195], v[80:83]// 000000003C90: D3D70050 0D43855A
	buffer_load_dwordx4 a[36:39], v34, s[24:27], 0 offen offset:1024// 000000003C98: E05C1400 80862422
	v_mfma_i32_16x16x32_i8 v[80:83], a[92:93], v[196:197], v[80:83]// 000000003CA0: D3D70050 0D43895C
	v_mfma_i32_16x16x32_i8 v[80:83], a[94:95], v[198:199], v[80:83]// 000000003CA8: D3D70050 0D438D5E
	ds_read_b128 v[172:175], v2 offset:1088                    // 000000003CB0: D9FE0440 AC000002
	v_mfma_i32_16x16x32_i8 v[84:87], a[80:81], v[200:201], v[84:87]// 000000003CB8: D3D70054 0D539150
	v_mfma_i32_16x16x32_i8 v[84:87], a[82:83], v[202:203], v[84:87]// 000000003CC0: D3D70054 0D539552
	buffer_load_dwordx4 a[40:43], v34, s[24:27], 0 offen offset:2048// 000000003CC8: E05C1800 80862822
	v_mfma_i32_16x16x32_i8 v[84:87], a[84:85], v[204:205], v[84:87]// 000000003CD0: D3D70054 0D539954
	v_mfma_i32_16x16x32_i8 v[84:87], a[86:87], v[206:207], v[84:87]// 000000003CD8: D3D70054 0D539D56
	ds_read_b128 v[176:179], v2 offset:1152                    // 000000003CE0: D9FE0480 B0000002
	v_mfma_i32_16x16x32_i8 v[84:87], a[88:89], v[208:209], v[84:87]// 000000003CE8: D3D70054 0D53A158
	v_mfma_i32_16x16x32_i8 v[84:87], a[90:91], v[210:211], v[84:87]// 000000003CF0: D3D70054 0D53A55A
	buffer_load_dwordx4 a[44:47], v34, s[24:27], 0 offen offset:3072// 000000003CF8: E05C1C00 80862C22
	v_mfma_i32_16x16x32_i8 v[84:87], a[92:93], v[212:213], v[84:87]// 000000003D00: D3D70054 0D53A95C
	v_mfma_i32_16x16x32_i8 v[84:87], a[94:95], v[214:215], v[84:87]// 000000003D08: D3D70054 0D53AD5E
	ds_read_b128 v[180:183], v2 offset:1216                    // 000000003D10: D9FE04C0 B4000002
	s_add_u32 s60, 0x200, s80                                  // 000000003D18: 803C50FF 00000200
	s_cmp_lt_u32 s60, s81                                      // 000000003D20: BF0A513C
	s_cselect_b32 s57, s57, 0                                  // 000000003D24: 85398039
	s_add_u32 s60, 0x200, s80                                  // 000000003D28: 803C50FF 00000200
	s_cmp_lt_u32 s60, s81                                      // 000000003D30: BF0A513C
	s_cselect_b32 s58, s58, 0                                  // 000000003D34: 853A803A
	s_add_u32 s20, s57, s20                                    // 000000003D38: 80141439
	s_addc_u32 s21, 0, s21                                     // 000000003D3C: 82151580
	s_add_u32 s24, s58, s24                                    // 000000003D40: 8018183A
	s_addc_u32 s25, 0, s25                                     // 000000003D44: 82191980
	s_add_u32 s92, s90, s92                                    // 000000003D48: 805C5C5A
	s_addc_u32 s93, 0, s93                                     // 000000003D4C: 825D5D80
	s_addk_i32 s80, 0x100                                      // 000000003D50: B7500100
	s_cmp_lt_i32 s80, s81                                      // 000000003D54: BF045150
	s_cbranch_scc0 label_0498                                  // 000000003D58: BF840001
	s_branch label_022B                                        // 000000003D5C: BF82FD93

0000000000003d60 <label_0498>:
	s_mov_b32 s36, -1                                          // 000000003D60: BEA400C1
	s_mov_b32 s37, -1                                          // 000000003D64: BEA500C1
	s_mov_b64 s[60:61], 0                                      // 000000003D68: BEBC0180
	s_cmp_lt_u32 s82, s66                                      // 000000003D6C: BF0A4252
	s_cselect_b64 s[20:21], s[36:37], s[60:61]                 // 000000003D70: 85943C24
	s_cmp_lt_u32 s83, s66                                      // 000000003D74: BF0A4253
	s_cselect_b64 s[22:23], s[36:37], s[60:61]                 // 000000003D78: 85963C24
	s_cmp_lt_u32 s84, s66                                      // 000000003D7C: BF0A4254
	s_cselect_b64 s[24:25], s[36:37], s[60:61]                 // 000000003D80: 85983C24
	s_cmp_lt_u32 s85, s66                                      // 000000003D84: BF0A4255
	s_cselect_b64 s[26:27], s[36:37], s[60:61]                 // 000000003D88: 859A3C24
	s_cmp_lt_u32 s86, s66                                      // 000000003D8C: BF0A4256
	s_cselect_b64 s[28:29], s[36:37], s[60:61]                 // 000000003D90: 859C3C24
	s_cmp_lt_u32 s87, s66                                      // 000000003D94: BF0A4257
	s_cselect_b64 s[30:31], s[36:37], s[60:61]                 // 000000003D98: 859E3C24
	s_cmp_lt_u32 s88, s66                                      // 000000003D9C: BF0A4258
	s_cselect_b64 s[32:33], s[36:37], s[60:61]                 // 000000003DA0: 85A03C24
	s_cmp_lt_u32 s89, s66                                      // 000000003DA4: BF0A4259
	s_cselect_b64 s[34:35], s[36:37], s[60:61]                 // 000000003DA8: 85A23C24
	v_cvt_f32_i32_e32 v128, v128                               // 000000003DAC: 7F000B80
	v_cvt_f32_i32_e32 v129, v129                               // 000000003DB0: 7F020B81
	v_cvt_f32_i32_e32 v130, v130                               // 000000003DB4: 7F040B82
	v_cvt_f32_i32_e32 v131, v131                               // 000000003DB8: 7F060B83
	v_mul_f32_e32 v128, v13, v128                              // 000000003DBC: 0B01010D
	v_mul_f32_e32 v129, v13, v129                              // 000000003DC0: 0B03030D
	v_mul_f32_e32 v130, v13, v130                              // 000000003DC4: 0B05050D
	v_mul_f32_e32 v131, v13, v131                              // 000000003DC8: 0B07070D
	v_mul_f32_dpp v128, v15, v128 row_newbcast:0 row_mask:0xf bank_mask:0xf// 000000003DCC: 0B0100FA FF01500F
	v_mul_f32_dpp v129, v15, v129 row_newbcast:1 row_mask:0xf bank_mask:0xf// 000000003DD4: 0B0302FA FF01510F
	v_mul_f32_dpp v130, v15, v130 row_newbcast:2 row_mask:0xf bank_mask:0xf// 000000003DDC: 0B0504FA FF01520F
	v_mul_f32_dpp v131, v15, v131 row_newbcast:3 row_mask:0xf bank_mask:0xf// 000000003DE4: 0B0706FA FF01530F
	v_cvt_f32_i32_e32 v132, v132                               // 000000003DEC: 7F080B84
	v_cvt_f32_i32_e32 v133, v133                               // 000000003DF0: 7F0A0B85
	v_cvt_f32_i32_e32 v134, v134                               // 000000003DF4: 7F0C0B86
	v_cvt_f32_i32_e32 v135, v135                               // 000000003DF8: 7F0E0B87
	v_mul_f32_e32 v132, v14, v132                              // 000000003DFC: 0B09090E
	v_mul_f32_e32 v133, v14, v133                              // 000000003E00: 0B0B0B0E
	v_mul_f32_e32 v134, v14, v134                              // 000000003E04: 0B0D0D0E
	v_mul_f32_e32 v135, v14, v135                              // 000000003E08: 0B0F0F0E
	v_mul_f32_dpp v132, v15, v132 row_newbcast:0 row_mask:0xf bank_mask:0xf// 000000003E0C: 0B0908FA FF01500F
	v_mul_f32_dpp v133, v15, v133 row_newbcast:1 row_mask:0xf bank_mask:0xf// 000000003E14: 0B0B0AFA FF01510F
	v_mul_f32_dpp v134, v15, v134 row_newbcast:2 row_mask:0xf bank_mask:0xf// 000000003E1C: 0B0D0CFA FF01520F
	v_mul_f32_dpp v135, v15, v135 row_newbcast:3 row_mask:0xf bank_mask:0xf// 000000003E24: 0B0F0EFA FF01530F
	v_cvt_f32_i32_e32 v136, v136                               // 000000003E2C: 7F100B88
	v_cvt_f32_i32_e32 v137, v137                               // 000000003E30: 7F120B89
	v_cvt_f32_i32_e32 v138, v138                               // 000000003E34: 7F140B8A
	v_cvt_f32_i32_e32 v139, v139                               // 000000003E38: 7F160B8B
	v_mul_f32_e32 v136, v13, v136                              // 000000003E3C: 0B11110D
	v_mul_f32_e32 v137, v13, v137                              // 000000003E40: 0B13130D
	v_mul_f32_e32 v138, v13, v138                              // 000000003E44: 0B15150D
	v_mul_f32_e32 v139, v13, v139                              // 000000003E48: 0B17170D
	v_mul_f32_dpp v136, v15, v136 row_newbcast:4 row_mask:0xf bank_mask:0xf// 000000003E4C: 0B1110FA FF01540F
	v_mul_f32_dpp v137, v15, v137 row_newbcast:5 row_mask:0xf bank_mask:0xf// 000000003E54: 0B1312FA FF01550F
	v_mul_f32_dpp v138, v15, v138 row_newbcast:6 row_mask:0xf bank_mask:0xf// 000000003E5C: 0B1514FA FF01560F
	v_mul_f32_dpp v139, v15, v139 row_newbcast:7 row_mask:0xf bank_mask:0xf// 000000003E64: 0B1716FA FF01570F
	v_cvt_f32_i32_e32 v140, v140                               // 000000003E6C: 7F180B8C
	v_cvt_f32_i32_e32 v141, v141                               // 000000003E70: 7F1A0B8D
	v_cvt_f32_i32_e32 v142, v142                               // 000000003E74: 7F1C0B8E
	v_cvt_f32_i32_e32 v143, v143                               // 000000003E78: 7F1E0B8F
	v_mul_f32_e32 v140, v14, v140                              // 000000003E7C: 0B19190E
	v_mul_f32_e32 v141, v14, v141                              // 000000003E80: 0B1B1B0E
	v_mul_f32_e32 v142, v14, v142                              // 000000003E84: 0B1D1D0E
	v_mul_f32_e32 v143, v14, v143                              // 000000003E88: 0B1F1F0E
	v_mul_f32_dpp v140, v15, v140 row_newbcast:4 row_mask:0xf bank_mask:0xf// 000000003E8C: 0B1918FA FF01540F
	v_mul_f32_dpp v141, v15, v141 row_newbcast:5 row_mask:0xf bank_mask:0xf// 000000003E94: 0B1B1AFA FF01550F
	v_mul_f32_dpp v142, v15, v142 row_newbcast:6 row_mask:0xf bank_mask:0xf// 000000003E9C: 0B1D1CFA FF01560F
	v_mul_f32_dpp v143, v15, v143 row_newbcast:7 row_mask:0xf bank_mask:0xf// 000000003EA4: 0B1F1EFA FF01570F
	v_cvt_f32_i32_e32 v144, v144                               // 000000003EAC: 7F200B90
	v_cvt_f32_i32_e32 v145, v145                               // 000000003EB0: 7F220B91
	v_cvt_f32_i32_e32 v146, v146                               // 000000003EB4: 7F240B92
	v_cvt_f32_i32_e32 v147, v147                               // 000000003EB8: 7F260B93
	v_mul_f32_e32 v144, v13, v144                              // 000000003EBC: 0B21210D
	v_mul_f32_e32 v145, v13, v145                              // 000000003EC0: 0B23230D
	v_mul_f32_e32 v146, v13, v146                              // 000000003EC4: 0B25250D
	v_mul_f32_e32 v147, v13, v147                              // 000000003EC8: 0B27270D
	v_mul_f32_dpp v144, v15, v144 row_newbcast:8 row_mask:0xf bank_mask:0xf// 000000003ECC: 0B2120FA FF01580F
	v_mul_f32_dpp v145, v15, v145 row_newbcast:9 row_mask:0xf bank_mask:0xf// 000000003ED4: 0B2322FA FF01590F
	v_mul_f32_dpp v146, v15, v146 row_newbcast:10 row_mask:0xf bank_mask:0xf// 000000003EDC: 0B2524FA FF015A0F
	v_mul_f32_dpp v147, v15, v147 row_newbcast:11 row_mask:0xf bank_mask:0xf// 000000003EE4: 0B2726FA FF015B0F
	v_cvt_f32_i32_e32 v148, v148                               // 000000003EEC: 7F280B94
	v_cvt_f32_i32_e32 v149, v149                               // 000000003EF0: 7F2A0B95
	v_cvt_f32_i32_e32 v150, v150                               // 000000003EF4: 7F2C0B96
	v_cvt_f32_i32_e32 v151, v151                               // 000000003EF8: 7F2E0B97
	v_mul_f32_e32 v148, v14, v148                              // 000000003EFC: 0B29290E
	v_mul_f32_e32 v149, v14, v149                              // 000000003F00: 0B2B2B0E
	v_mul_f32_e32 v150, v14, v150                              // 000000003F04: 0B2D2D0E
	v_mul_f32_e32 v151, v14, v151                              // 000000003F08: 0B2F2F0E
	v_mul_f32_dpp v148, v15, v148 row_newbcast:8 row_mask:0xf bank_mask:0xf// 000000003F0C: 0B2928FA FF01580F
	v_mul_f32_dpp v149, v15, v149 row_newbcast:9 row_mask:0xf bank_mask:0xf// 000000003F14: 0B2B2AFA FF01590F
	v_mul_f32_dpp v150, v15, v150 row_newbcast:10 row_mask:0xf bank_mask:0xf// 000000003F1C: 0B2D2CFA FF015A0F
	v_mul_f32_dpp v151, v15, v151 row_newbcast:11 row_mask:0xf bank_mask:0xf// 000000003F24: 0B2F2EFA FF015B0F
	v_cvt_f32_i32_e32 v64, v64                                 // 000000003F2C: 7E800B40
	v_cvt_f32_i32_e32 v65, v65                                 // 000000003F30: 7E820B41
	v_cvt_f32_i32_e32 v66, v66                                 // 000000003F34: 7E840B42
	v_cvt_f32_i32_e32 v67, v67                                 // 000000003F38: 7E860B43
	v_mul_f32_e32 v64, v13, v64                                // 000000003F3C: 0A80810D
	v_mul_f32_e32 v65, v13, v65                                // 000000003F40: 0A82830D
	v_mul_f32_e32 v66, v13, v66                                // 000000003F44: 0A84850D
	v_mul_f32_e32 v67, v13, v67                                // 000000003F48: 0A86870D
	v_mul_f32_dpp v64, v43, v64 row_newbcast:0 row_mask:0xf bank_mask:0xf// 000000003F4C: 0A8080FA FF01502B
	v_mul_f32_dpp v65, v43, v65 row_newbcast:1 row_mask:0xf bank_mask:0xf// 000000003F54: 0A8282FA FF01512B
	v_mul_f32_dpp v66, v43, v66 row_newbcast:2 row_mask:0xf bank_mask:0xf// 000000003F5C: 0A8484FA FF01522B
	v_mul_f32_dpp v67, v43, v67 row_newbcast:3 row_mask:0xf bank_mask:0xf// 000000003F64: 0A8686FA FF01532B
	v_cvt_f32_i32_e32 v68, v68                                 // 000000003F6C: 7E880B44
	v_cvt_f32_i32_e32 v69, v69                                 // 000000003F70: 7E8A0B45
	v_cvt_f32_i32_e32 v70, v70                                 // 000000003F74: 7E8C0B46
	v_cvt_f32_i32_e32 v71, v71                                 // 000000003F78: 7E8E0B47
	v_mul_f32_e32 v68, v14, v68                                // 000000003F7C: 0A88890E
	v_mul_f32_e32 v69, v14, v69                                // 000000003F80: 0A8A8B0E
	v_mul_f32_e32 v70, v14, v70                                // 000000003F84: 0A8C8D0E
	v_mul_f32_e32 v71, v14, v71                                // 000000003F88: 0A8E8F0E
	v_mul_f32_dpp v68, v43, v68 row_newbcast:0 row_mask:0xf bank_mask:0xf// 000000003F8C: 0A8888FA FF01502B
	v_mul_f32_dpp v69, v43, v69 row_newbcast:1 row_mask:0xf bank_mask:0xf// 000000003F94: 0A8A8AFA FF01512B
	v_mul_f32_dpp v70, v43, v70 row_newbcast:2 row_mask:0xf bank_mask:0xf// 000000003F9C: 0A8C8CFA FF01522B
	v_mul_f32_dpp v71, v43, v71 row_newbcast:3 row_mask:0xf bank_mask:0xf// 000000003FA4: 0A8E8EFA FF01532B
	v_cvt_f32_i32_e32 v72, v72                                 // 000000003FAC: 7E900B48
	v_cvt_f32_i32_e32 v73, v73                                 // 000000003FB0: 7E920B49
	v_cvt_f32_i32_e32 v74, v74                                 // 000000003FB4: 7E940B4A
	v_cvt_f32_i32_e32 v75, v75                                 // 000000003FB8: 7E960B4B
	v_mul_f32_e32 v72, v13, v72                                // 000000003FBC: 0A90910D
	v_mul_f32_e32 v73, v13, v73                                // 000000003FC0: 0A92930D
	v_mul_f32_e32 v74, v13, v74                                // 000000003FC4: 0A94950D
	v_mul_f32_e32 v75, v13, v75                                // 000000003FC8: 0A96970D
	v_mul_f32_dpp v72, v43, v72 row_newbcast:4 row_mask:0xf bank_mask:0xf// 000000003FCC: 0A9090FA FF01542B
	v_mul_f32_dpp v73, v43, v73 row_newbcast:5 row_mask:0xf bank_mask:0xf// 000000003FD4: 0A9292FA FF01552B
	v_mul_f32_dpp v74, v43, v74 row_newbcast:6 row_mask:0xf bank_mask:0xf// 000000003FDC: 0A9494FA FF01562B
	v_mul_f32_dpp v75, v43, v75 row_newbcast:7 row_mask:0xf bank_mask:0xf// 000000003FE4: 0A9696FA FF01572B
	v_cvt_f32_i32_e32 v76, v76                                 // 000000003FEC: 7E980B4C
	v_cvt_f32_i32_e32 v77, v77                                 // 000000003FF0: 7E9A0B4D
	v_cvt_f32_i32_e32 v78, v78                                 // 000000003FF4: 7E9C0B4E
	v_cvt_f32_i32_e32 v79, v79                                 // 000000003FF8: 7E9E0B4F
	v_mul_f32_e32 v76, v14, v76                                // 000000003FFC: 0A98990E
	v_mul_f32_e32 v77, v14, v77                                // 000000004000: 0A9A9B0E
	v_mul_f32_e32 v78, v14, v78                                // 000000004004: 0A9C9D0E
	v_mul_f32_e32 v79, v14, v79                                // 000000004008: 0A9E9F0E
	v_mul_f32_dpp v76, v43, v76 row_newbcast:4 row_mask:0xf bank_mask:0xf// 00000000400C: 0A9898FA FF01542B
	v_mul_f32_dpp v77, v43, v77 row_newbcast:5 row_mask:0xf bank_mask:0xf// 000000004014: 0A9A9AFA FF01552B
	v_mul_f32_dpp v78, v43, v78 row_newbcast:6 row_mask:0xf bank_mask:0xf// 00000000401C: 0A9C9CFA FF01562B
	v_mul_f32_dpp v79, v43, v79 row_newbcast:7 row_mask:0xf bank_mask:0xf// 000000004024: 0A9E9EFA FF01572B
	v_cvt_f32_i32_e32 v80, v80                                 // 00000000402C: 7EA00B50
	v_cvt_f32_i32_e32 v81, v81                                 // 000000004030: 7EA20B51
	v_cvt_f32_i32_e32 v82, v82                                 // 000000004034: 7EA40B52
	v_cvt_f32_i32_e32 v83, v83                                 // 000000004038: 7EA60B53
	v_mul_f32_e32 v80, v13, v80                                // 00000000403C: 0AA0A10D
	v_mul_f32_e32 v81, v13, v81                                // 000000004040: 0AA2A30D
	v_mul_f32_e32 v82, v13, v82                                // 000000004044: 0AA4A50D
	v_mul_f32_e32 v83, v13, v83                                // 000000004048: 0AA6A70D
	v_mul_f32_dpp v80, v43, v80 row_newbcast:8 row_mask:0xf bank_mask:0xf// 00000000404C: 0AA0A0FA FF01582B
	v_mul_f32_dpp v81, v43, v81 row_newbcast:9 row_mask:0xf bank_mask:0xf// 000000004054: 0AA2A2FA FF01592B
	v_mul_f32_dpp v82, v43, v82 row_newbcast:10 row_mask:0xf bank_mask:0xf// 00000000405C: 0AA4A4FA FF015A2B
	v_mul_f32_dpp v83, v43, v83 row_newbcast:11 row_mask:0xf bank_mask:0xf// 000000004064: 0AA6A6FA FF015B2B
	v_cvt_f32_i32_e32 v84, v84                                 // 00000000406C: 7EA80B54
	v_cvt_f32_i32_e32 v85, v85                                 // 000000004070: 7EAA0B55
	v_cvt_f32_i32_e32 v86, v86                                 // 000000004074: 7EAC0B56
	v_cvt_f32_i32_e32 v87, v87                                 // 000000004078: 7EAE0B57
	v_mul_f32_e32 v84, v14, v84                                // 00000000407C: 0AA8A90E
	v_mul_f32_e32 v85, v14, v85                                // 000000004080: 0AAAAB0E
	v_mul_f32_e32 v86, v14, v86                                // 000000004084: 0AACAD0E
	v_mul_f32_e32 v87, v14, v87                                // 000000004088: 0AAEAF0E
	v_mul_f32_dpp v84, v43, v84 row_newbcast:8 row_mask:0xf bank_mask:0xf// 00000000408C: 0AA8A8FA FF01582B
	v_mul_f32_dpp v85, v43, v85 row_newbcast:9 row_mask:0xf bank_mask:0xf// 000000004094: 0AAAAAFA FF01592B
	v_mul_f32_dpp v86, v43, v86 row_newbcast:10 row_mask:0xf bank_mask:0xf// 00000000409C: 0AACACFA FF015A2B
	v_mul_f32_dpp v87, v43, v87 row_newbcast:11 row_mask:0xf bank_mask:0xf// 0000000040A4: 0AAEAEFA FF015B2B
	s_waitcnt vmcnt(8)                                         // 0000000040AC: BF8C0F78
	buffer_load_dwordx4 a[0:3], v35, s[12:15], 0 offen         // 0000000040B0: E05C1000 80830023
	v_mul_f32_e32 v44, v128, v128                              // 0000000040B8: 0A590180
	v_mul_f32_e32 v45, v129, v129                              // 0000000040BC: 0A5B0381
	v_mul_f32_e32 v46, v130, v130                              // 0000000040C0: 0A5D0582
	v_mul_f32_e32 v47, v131, v131                              // 0000000040C4: 0A5F0783
	v_fma_f32 v44, v44, s77, v1                                // 0000000040C8: D1CB002C 04049B2C
	v_fma_f32 v45, v45, s77, v1                                // 0000000040D0: D1CB002D 04049B2D
	v_fma_f32 v46, v46, s77, v1                                // 0000000040D8: D1CB002E 04049B2E
	v_fma_f32 v47, v47, s77, v1                                // 0000000040E0: D1CB002F 04049B2F
	v_mul_f32_e32 v44, v44, v128                               // 0000000040E8: 0A59012C
	v_mul_f32_e32 v45, v45, v129                               // 0000000040EC: 0A5B032D
	v_mul_f32_e32 v46, v46, v130                               // 0000000040F0: 0A5D052E
	v_mul_f32_e32 v47, v47, v131                               // 0000000040F4: 0A5F072F
	v_mul_f32_e64 v44, v44, s6                                 // 0000000040F8: D105002C 00000D2C
	v_mul_f32_e64 v45, v45, s6                                 // 000000004100: D105002D 00000D2D
	v_mul_f32_e64 v46, v46, s6                                 // 000000004108: D105002E 00000D2E
	v_mul_f32_e64 v47, v47, s6                                 // 000000004110: D105002F 00000D2F
	v_exp_f32_e32 v44, v44                                     // 000000004118: 7E58412C
	v_exp_f32_e32 v45, v45                                     // 00000000411C: 7E5A412D
	v_exp_f32_e32 v46, v46                                     // 000000004120: 7E5C412E
	v_exp_f32_e32 v47, v47                                     // 000000004124: 7E5E412F
	buffer_load_dwordx4 a[4:7], v36, s[12:15], 0 offen         // 000000004128: E05C1000 80830424
	v_add_f32_e64 v44, v44, 1.0                                // 000000004130: D101002C 0001E52C
	v_add_f32_e64 v45, v45, 1.0                                // 000000004138: D101002D 0001E52D
	v_add_f32_e64 v46, v46, 1.0                                // 000000004140: D101002E 0001E52E
	v_add_f32_e64 v47, v47, 1.0                                // 000000004148: D101002F 0001E52F
	v_rcp_f32_e32 v44, v44                                     // 000000004150: 7E58452C
	v_rcp_f32_e32 v45, v45                                     // 000000004154: 7E5A452D
	v_rcp_f32_e32 v46, v46                                     // 000000004158: 7E5C452E
	v_rcp_f32_e32 v47, v47                                     // 00000000415C: 7E5E452F
	v_mul_f32_e32 v128, v128, v44                              // 000000004160: 0B005980
	v_mul_f32_e32 v129, v129, v45                              // 000000004164: 0B025B81
	v_mul_f32_e32 v130, v130, v46                              // 000000004168: 0B045D82
	v_mul_f32_e32 v131, v131, v47                              // 00000000416C: 0B065F83
	v_mul_f32_e32 v128, v128, v64                              // 000000004170: 0B008180
	v_mul_f32_e32 v129, v129, v65                              // 000000004174: 0B028381
	v_mul_f32_e32 v130, v130, v66                              // 000000004178: 0B048582
	v_mul_f32_e32 v131, v131, v67                              // 00000000417C: 0B068783
	buffer_load_dwordx4 a[8:11], v37, s[12:15], 0 offen        // 000000004180: E05C1000 80830825
	v_mul_f32_e32 v44, v132, v132                              // 000000004188: 0A590984
	v_mul_f32_e32 v45, v133, v133                              // 00000000418C: 0A5B0B85
	v_mul_f32_e32 v46, v134, v134                              // 000000004190: 0A5D0D86
	v_mul_f32_e32 v47, v135, v135                              // 000000004194: 0A5F0F87
	v_fma_f32 v44, v44, s77, v1                                // 000000004198: D1CB002C 04049B2C
	v_fma_f32 v45, v45, s77, v1                                // 0000000041A0: D1CB002D 04049B2D
	v_fma_f32 v46, v46, s77, v1                                // 0000000041A8: D1CB002E 04049B2E
	v_fma_f32 v47, v47, s77, v1                                // 0000000041B0: D1CB002F 04049B2F
	v_mul_f32_e32 v44, v44, v132                               // 0000000041B8: 0A59092C
	v_mul_f32_e32 v45, v45, v133                               // 0000000041BC: 0A5B0B2D
	v_mul_f32_e32 v46, v46, v134                               // 0000000041C0: 0A5D0D2E
	v_mul_f32_e32 v47, v47, v135                               // 0000000041C4: 0A5F0F2F
	v_mul_f32_e64 v44, v44, s6                                 // 0000000041C8: D105002C 00000D2C
	v_mul_f32_e64 v45, v45, s6                                 // 0000000041D0: D105002D 00000D2D
	v_mul_f32_e64 v46, v46, s6                                 // 0000000041D8: D105002E 00000D2E
	v_mul_f32_e64 v47, v47, s6                                 // 0000000041E0: D105002F 00000D2F
	v_exp_f32_e32 v44, v44                                     // 0000000041E8: 7E58412C
	v_exp_f32_e32 v45, v45                                     // 0000000041EC: 7E5A412D
	v_exp_f32_e32 v46, v46                                     // 0000000041F0: 7E5C412E
	v_exp_f32_e32 v47, v47                                     // 0000000041F4: 7E5E412F
	buffer_load_dwordx4 a[12:15], v38, s[12:15], 0 offen       // 0000000041F8: E05C1000 80830C26
	s_add_u32 s12, s78, s12                                    // 000000004200: 800C0C4E
	s_addc_u32 s13, 0, s13                                     // 000000004204: 820D0D80
	v_add_f32_e64 v44, v44, 1.0                                // 000000004208: D101002C 0001E52C
	v_add_f32_e64 v45, v45, 1.0                                // 000000004210: D101002D 0001E52D
	v_add_f32_e64 v46, v46, 1.0                                // 000000004218: D101002E 0001E52E
	v_add_f32_e64 v47, v47, 1.0                                // 000000004220: D101002F 0001E52F
	v_rcp_f32_e32 v44, v44                                     // 000000004228: 7E58452C
	v_rcp_f32_e32 v45, v45                                     // 00000000422C: 7E5A452D
	v_rcp_f32_e32 v46, v46                                     // 000000004230: 7E5C452E
	v_rcp_f32_e32 v47, v47                                     // 000000004234: 7E5E452F
	v_mul_f32_e32 v132, v132, v44                              // 000000004238: 0B085984
	v_mul_f32_e32 v133, v133, v45                              // 00000000423C: 0B0A5B85
	v_mul_f32_e32 v134, v134, v46                              // 000000004240: 0B0C5D86
	v_mul_f32_e32 v135, v135, v47                              // 000000004244: 0B0E5F87
	v_mul_f32_e32 v132, v132, v68                              // 000000004248: 0B088984
	v_mul_f32_e32 v133, v133, v69                              // 00000000424C: 0B0A8B85
	v_mul_f32_e32 v134, v134, v70                              // 000000004250: 0B0C8D86
	v_mul_f32_e32 v135, v135, v71                              // 000000004254: 0B0E8F87
	s_waitcnt vmcnt(8)                                         // 000000004258: BF8C0F78
	buffer_load_dwordx4 a[16:19], v35, s[12:15], 0 offen       // 00000000425C: E05C1000 80831023
	v_mul_f32_e32 v44, v136, v136                              // 000000004264: 0A591188
	v_mul_f32_e32 v45, v137, v137                              // 000000004268: 0A5B1389
	v_mul_f32_e32 v46, v138, v138                              // 00000000426C: 0A5D158A
	v_mul_f32_e32 v47, v139, v139                              // 000000004270: 0A5F178B
	v_fma_f32 v44, v44, s77, v1                                // 000000004274: D1CB002C 04049B2C
	v_fma_f32 v45, v45, s77, v1                                // 00000000427C: D1CB002D 04049B2D
	v_fma_f32 v46, v46, s77, v1                                // 000000004284: D1CB002E 04049B2E
	v_fma_f32 v47, v47, s77, v1                                // 00000000428C: D1CB002F 04049B2F
	v_mul_f32_e32 v44, v44, v136                               // 000000004294: 0A59112C
	v_mul_f32_e32 v45, v45, v137                               // 000000004298: 0A5B132D
	v_mul_f32_e32 v46, v46, v138                               // 00000000429C: 0A5D152E
	v_mul_f32_e32 v47, v47, v139                               // 0000000042A0: 0A5F172F
	v_mul_f32_e64 v44, v44, s6                                 // 0000000042A4: D105002C 00000D2C
	v_mul_f32_e64 v45, v45, s6                                 // 0000000042AC: D105002D 00000D2D
	v_mul_f32_e64 v46, v46, s6                                 // 0000000042B4: D105002E 00000D2E
	v_mul_f32_e64 v47, v47, s6                                 // 0000000042BC: D105002F 00000D2F
	v_exp_f32_e32 v44, v44                                     // 0000000042C4: 7E58412C
	v_exp_f32_e32 v45, v45                                     // 0000000042C8: 7E5A412D
	v_exp_f32_e32 v46, v46                                     // 0000000042CC: 7E5C412E
	v_exp_f32_e32 v47, v47                                     // 0000000042D0: 7E5E412F
	buffer_load_dwordx4 a[20:23], v36, s[12:15], 0 offen       // 0000000042D4: E05C1000 80831424
	v_add_f32_e64 v44, v44, 1.0                                // 0000000042DC: D101002C 0001E52C
	v_add_f32_e64 v45, v45, 1.0                                // 0000000042E4: D101002D 0001E52D
	v_add_f32_e64 v46, v46, 1.0                                // 0000000042EC: D101002E 0001E52E
	v_add_f32_e64 v47, v47, 1.0                                // 0000000042F4: D101002F 0001E52F
	v_rcp_f32_e32 v44, v44                                     // 0000000042FC: 7E58452C
	v_rcp_f32_e32 v45, v45                                     // 000000004300: 7E5A452D
	v_rcp_f32_e32 v46, v46                                     // 000000004304: 7E5C452E
	v_rcp_f32_e32 v47, v47                                     // 000000004308: 7E5E452F
	v_mul_f32_e32 v136, v136, v44                              // 00000000430C: 0B105988
	v_mul_f32_e32 v137, v137, v45                              // 000000004310: 0B125B89
	v_mul_f32_e32 v138, v138, v46                              // 000000004314: 0B145D8A
	v_mul_f32_e32 v139, v139, v47                              // 000000004318: 0B165F8B
	v_mul_f32_e32 v136, v136, v72                              // 00000000431C: 0B109188
	v_mul_f32_e32 v137, v137, v73                              // 000000004320: 0B129389
	v_mul_f32_e32 v138, v138, v74                              // 000000004324: 0B14958A
	v_mul_f32_e32 v139, v139, v75                              // 000000004328: 0B16978B
	buffer_load_dwordx4 a[24:27], v37, s[12:15], 0 offen       // 00000000432C: E05C1000 80831825
	v_mul_f32_e32 v44, v140, v140                              // 000000004334: 0A59198C
	v_mul_f32_e32 v45, v141, v141                              // 000000004338: 0A5B1B8D
	v_mul_f32_e32 v46, v142, v142                              // 00000000433C: 0A5D1D8E
	v_mul_f32_e32 v47, v143, v143                              // 000000004340: 0A5F1F8F
	v_fma_f32 v44, v44, s77, v1                                // 000000004344: D1CB002C 04049B2C
	v_fma_f32 v45, v45, s77, v1                                // 00000000434C: D1CB002D 04049B2D
	v_fma_f32 v46, v46, s77, v1                                // 000000004354: D1CB002E 04049B2E
	v_fma_f32 v47, v47, s77, v1                                // 00000000435C: D1CB002F 04049B2F
	v_mul_f32_e32 v44, v44, v140                               // 000000004364: 0A59192C
	v_mul_f32_e32 v45, v45, v141                               // 000000004368: 0A5B1B2D
	v_mul_f32_e32 v46, v46, v142                               // 00000000436C: 0A5D1D2E
	v_mul_f32_e32 v47, v47, v143                               // 000000004370: 0A5F1F2F
	v_mul_f32_e64 v44, v44, s6                                 // 000000004374: D105002C 00000D2C
	v_mul_f32_e64 v45, v45, s6                                 // 00000000437C: D105002D 00000D2D
	v_mul_f32_e64 v46, v46, s6                                 // 000000004384: D105002E 00000D2E
	v_mul_f32_e64 v47, v47, s6                                 // 00000000438C: D105002F 00000D2F
	v_exp_f32_e32 v44, v44                                     // 000000004394: 7E58412C
	v_exp_f32_e32 v45, v45                                     // 000000004398: 7E5A412D
	v_exp_f32_e32 v46, v46                                     // 00000000439C: 7E5C412E
	v_exp_f32_e32 v47, v47                                     // 0000000043A0: 7E5E412F
	buffer_load_dwordx4 a[28:31], v38, s[12:15], 0 offen       // 0000000043A4: E05C1000 80831C26
	s_add_u32 s12, s78, s12                                    // 0000000043AC: 800C0C4E
	s_addc_u32 s13, 0, s13                                     // 0000000043B0: 820D0D80
	v_add_f32_e64 v44, v44, 1.0                                // 0000000043B4: D101002C 0001E52C
	v_add_f32_e64 v45, v45, 1.0                                // 0000000043BC: D101002D 0001E52D
	v_add_f32_e64 v46, v46, 1.0                                // 0000000043C4: D101002E 0001E52E
	v_add_f32_e64 v47, v47, 1.0                                // 0000000043CC: D101002F 0001E52F
	v_rcp_f32_e32 v44, v44                                     // 0000000043D4: 7E58452C
	v_rcp_f32_e32 v45, v45                                     // 0000000043D8: 7E5A452D
	v_rcp_f32_e32 v46, v46                                     // 0000000043DC: 7E5C452E
	v_rcp_f32_e32 v47, v47                                     // 0000000043E0: 7E5E452F
	v_mul_f32_e32 v140, v140, v44                              // 0000000043E4: 0B18598C
	v_mul_f32_e32 v141, v141, v45                              // 0000000043E8: 0B1A5B8D
	v_mul_f32_e32 v142, v142, v46                              // 0000000043EC: 0B1C5D8E
	v_mul_f32_e32 v143, v143, v47                              // 0000000043F0: 0B1E5F8F
	v_mul_f32_e32 v140, v140, v76                              // 0000000043F4: 0B18998C
	v_mul_f32_e32 v141, v141, v77                              // 0000000043F8: 0B1A9B8D
	v_mul_f32_e32 v142, v142, v78                              // 0000000043FC: 0B1C9D8E
	v_mul_f32_e32 v143, v143, v79                              // 000000004400: 0B1E9F8F
	s_waitcnt vmcnt(8)                                         // 000000004404: BF8C0F78
	buffer_load_dwordx4 a[32:35], v35, s[12:15], 0 offen       // 000000004408: E05C1000 80832023
	v_mul_f32_e32 v44, v144, v144                              // 000000004410: 0A592190
	v_mul_f32_e32 v45, v145, v145                              // 000000004414: 0A5B2391
	v_mul_f32_e32 v46, v146, v146                              // 000000004418: 0A5D2592
	v_mul_f32_e32 v47, v147, v147                              // 00000000441C: 0A5F2793
	v_fma_f32 v44, v44, s77, v1                                // 000000004420: D1CB002C 04049B2C
	v_fma_f32 v45, v45, s77, v1                                // 000000004428: D1CB002D 04049B2D
	v_fma_f32 v46, v46, s77, v1                                // 000000004430: D1CB002E 04049B2E
	v_fma_f32 v47, v47, s77, v1                                // 000000004438: D1CB002F 04049B2F
	v_mul_f32_e32 v44, v44, v144                               // 000000004440: 0A59212C
	v_mul_f32_e32 v45, v45, v145                               // 000000004444: 0A5B232D
	v_mul_f32_e32 v46, v46, v146                               // 000000004448: 0A5D252E
	v_mul_f32_e32 v47, v47, v147                               // 00000000444C: 0A5F272F
	v_mul_f32_e64 v44, v44, s6                                 // 000000004450: D105002C 00000D2C
	v_mul_f32_e64 v45, v45, s6                                 // 000000004458: D105002D 00000D2D
	v_mul_f32_e64 v46, v46, s6                                 // 000000004460: D105002E 00000D2E
	v_mul_f32_e64 v47, v47, s6                                 // 000000004468: D105002F 00000D2F
	v_exp_f32_e32 v44, v44                                     // 000000004470: 7E58412C
	v_exp_f32_e32 v45, v45                                     // 000000004474: 7E5A412D
	v_exp_f32_e32 v46, v46                                     // 000000004478: 7E5C412E
	v_exp_f32_e32 v47, v47                                     // 00000000447C: 7E5E412F
	buffer_load_dwordx4 a[36:39], v36, s[12:15], 0 offen       // 000000004480: E05C1000 80832424
	v_add_f32_e64 v44, v44, 1.0                                // 000000004488: D101002C 0001E52C
	v_add_f32_e64 v45, v45, 1.0                                // 000000004490: D101002D 0001E52D
	v_add_f32_e64 v46, v46, 1.0                                // 000000004498: D101002E 0001E52E
	v_add_f32_e64 v47, v47, 1.0                                // 0000000044A0: D101002F 0001E52F
	v_rcp_f32_e32 v44, v44                                     // 0000000044A8: 7E58452C
	v_rcp_f32_e32 v45, v45                                     // 0000000044AC: 7E5A452D
	v_rcp_f32_e32 v46, v46                                     // 0000000044B0: 7E5C452E
	v_rcp_f32_e32 v47, v47                                     // 0000000044B4: 7E5E452F
	v_mul_f32_e32 v144, v144, v44                              // 0000000044B8: 0B205990
	v_mul_f32_e32 v145, v145, v45                              // 0000000044BC: 0B225B91
	v_mul_f32_e32 v146, v146, v46                              // 0000000044C0: 0B245D92
	v_mul_f32_e32 v147, v147, v47                              // 0000000044C4: 0B265F93
	v_mul_f32_e32 v144, v144, v80                              // 0000000044C8: 0B20A190
	v_mul_f32_e32 v145, v145, v81                              // 0000000044CC: 0B22A391
	v_mul_f32_e32 v146, v146, v82                              // 0000000044D0: 0B24A592
	v_mul_f32_e32 v147, v147, v83                              // 0000000044D4: 0B26A793
	buffer_load_dwordx4 a[40:43], v37, s[12:15], 0 offen       // 0000000044D8: E05C1000 80832825
	v_mul_f32_e32 v44, v148, v148                              // 0000000044E0: 0A592994
	v_mul_f32_e32 v45, v149, v149                              // 0000000044E4: 0A5B2B95
	v_mul_f32_e32 v46, v150, v150                              // 0000000044E8: 0A5D2D96
	v_mul_f32_e32 v47, v151, v151                              // 0000000044EC: 0A5F2F97
	v_fma_f32 v44, v44, s77, v1                                // 0000000044F0: D1CB002C 04049B2C
	v_fma_f32 v45, v45, s77, v1                                // 0000000044F8: D1CB002D 04049B2D
	v_fma_f32 v46, v46, s77, v1                                // 000000004500: D1CB002E 04049B2E
	v_fma_f32 v47, v47, s77, v1                                // 000000004508: D1CB002F 04049B2F
	v_mul_f32_e32 v44, v44, v148                               // 000000004510: 0A59292C
	v_mul_f32_e32 v45, v45, v149                               // 000000004514: 0A5B2B2D
	v_mul_f32_e32 v46, v46, v150                               // 000000004518: 0A5D2D2E
	v_mul_f32_e32 v47, v47, v151                               // 00000000451C: 0A5F2F2F
	v_mul_f32_e64 v44, v44, s6                                 // 000000004520: D105002C 00000D2C
	v_mul_f32_e64 v45, v45, s6                                 // 000000004528: D105002D 00000D2D
	v_mul_f32_e64 v46, v46, s6                                 // 000000004530: D105002E 00000D2E
	v_mul_f32_e64 v47, v47, s6                                 // 000000004538: D105002F 00000D2F
	v_exp_f32_e32 v44, v44                                     // 000000004540: 7E58412C
	v_exp_f32_e32 v45, v45                                     // 000000004544: 7E5A412D
	v_exp_f32_e32 v46, v46                                     // 000000004548: 7E5C412E
	v_exp_f32_e32 v47, v47                                     // 00000000454C: 7E5E412F
	buffer_load_dwordx4 a[44:47], v38, s[12:15], 0 offen       // 000000004550: E05C1000 80832C26
	v_add_f32_e64 v44, v44, 1.0                                // 000000004558: D101002C 0001E52C
	v_add_f32_e64 v45, v45, 1.0                                // 000000004560: D101002D 0001E52D
	v_add_f32_e64 v46, v46, 1.0                                // 000000004568: D101002E 0001E52E
	v_add_f32_e64 v47, v47, 1.0                                // 000000004570: D101002F 0001E52F
	v_rcp_f32_e32 v44, v44                                     // 000000004578: 7E58452C
	v_rcp_f32_e32 v45, v45                                     // 00000000457C: 7E5A452D
	v_rcp_f32_e32 v46, v46                                     // 000000004580: 7E5C452E
	v_rcp_f32_e32 v47, v47                                     // 000000004584: 7E5E452F
	v_mul_f32_e32 v148, v148, v44                              // 000000004588: 0B285994
	v_mul_f32_e32 v149, v149, v45                              // 00000000458C: 0B2A5B95
	v_mul_f32_e32 v150, v150, v46                              // 000000004590: 0B2C5D96
	v_mul_f32_e32 v151, v151, v47                              // 000000004594: 0B2E5F97
	v_mul_f32_e32 v148, v148, v84                              // 000000004598: 0B28A994
	v_mul_f32_e32 v149, v149, v85                              // 00000000459C: 0B2AAB95
	v_mul_f32_e32 v150, v150, v86                              // 0000000045A0: 0B2CAD96
	v_mul_f32_e32 v151, v151, v87                              // 0000000045A4: 0B2EAF97
	v_lshlrev_b32_e32 v44, 2, v0                               // 0000000045A8: 24580082
	s_mul_i32 s60, s82, s71                                    // 0000000045AC: 923C4752
	v_add_u32_e64 v80, v44, s60                                // 0000000045B0: D1340050 0000792C
	v_mov_b32_e32 v81, 0                                       // 0000000045B8: 7EA20280
	s_mul_i32 s60, s83, s71                                    // 0000000045BC: 923C4753
	v_add_u32_e64 v82, v44, s60                                // 0000000045C0: D1340052 0000792C
	v_mov_b32_e32 v83, 0                                       // 0000000045C8: 7EA60280
	s_mul_i32 s60, s84, s71                                    // 0000000045CC: 923C4754
	v_add_u32_e64 v84, v44, s60                                // 0000000045D0: D1340054 0000792C
	v_mov_b32_e32 v85, 0                                       // 0000000045D8: 7EAA0280
	s_mul_i32 s60, s85, s71                                    // 0000000045DC: 923C4755
	v_add_u32_e64 v86, v44, s60                                // 0000000045E0: D1340056 0000792C
	v_mov_b32_e32 v87, 0                                       // 0000000045E8: 7EAE0280
	s_mul_i32 s60, s86, s71                                    // 0000000045EC: 923C4756
	v_add_u32_e64 v88, v44, s60                                // 0000000045F0: D1340058 0000792C
	v_mov_b32_e32 v89, 0                                       // 0000000045F8: 7EB20280
	s_mul_i32 s60, s87, s71                                    // 0000000045FC: 923C4757
	v_add_u32_e64 v90, v44, s60                                // 000000004600: D134005A 0000792C
	v_mov_b32_e32 v91, 0                                       // 000000004608: 7EB60280
	s_mul_i32 s60, s88, s71                                    // 00000000460C: 923C4758
	v_add_u32_e64 v92, v44, s60                                // 000000004610: D134005C 0000792C
	v_mov_b32_e32 v93, 0                                       // 000000004618: 7EBA0280
	s_mul_i32 s60, s89, s71                                    // 00000000461C: 923C4759
	v_add_u32_e64 v94, v44, s60                                // 000000004620: D134005E 0000792C
	v_mov_b32_e32 v95, 0                                       // 000000004628: 7EBE0280
	buffer_load_dword v11, v5, s[16:19], 0 offen               // 00000000462C: E0501000 80040B05
	v_mov_b32_e32 v20, 0x358637bd                              // 000000004634: 7E2802FF 358637BD
	v_mov_b32_e32 v21, 0x358637bd                              // 00000000463C: 7E2A02FF 358637BD
	v_max3_f32 v20, |v128|, |v129|, v20                        // 000000004644: D1D30314 04530380
	v_max3_f32 v20, |v130|, |v131|, v20                        // 00000000464C: D1D30314 04530782
	v_max3_f32 v21, |v132|, |v133|, v21                        // 000000004654: D1D30315 04570B84
	v_max3_f32 v21, |v134|, |v135|, v21                        // 00000000465C: D1D30315 04570F86
	v_max3_f32 v20, |v136|, |v137|, v20                        // 000000004664: D1D30314 04531388
	v_max3_f32 v20, |v138|, |v139|, v20                        // 00000000466C: D1D30314 0453178A
	v_max3_f32 v21, |v140|, |v141|, v21                        // 000000004674: D1D30315 04571B8C
	v_max3_f32 v21, |v142|, |v143|, v21                        // 00000000467C: D1D30315 04571F8E
	v_max3_f32 v20, |v144|, |v145|, v20                        // 000000004684: D1D30314 04532390
	v_max3_f32 v20, |v146|, |v147|, v20                        // 00000000468C: D1D30314 04532792
	v_max3_f32 v21, |v148|, |v149|, v21                        // 000000004694: D1D30315 04572B94
	v_max3_f32 v21, |v150|, |v151|, v21                        // 00000000469C: D1D30315 04572F96
	v_lshlrev_b32_e32 v44, 3, v0                               // 0000000046A4: 24580083
	s_mul_i32 s60, 0x200, s7                                   // 0000000046A8: 923C07FF 00000200
	v_add_u32_e32 v44, s60, v44                                // 0000000046B0: 6858583C
	ds_write_b64 v44, v[20:21] offset:16640                    // 0000000046B4: D89A4100 0000142C
	s_waitcnt lgkmcnt(0)                                       // 0000000046BC: BF8CC07F
	s_barrier                                                  // 0000000046C0: BF8A0000
	v_and_b32_e32 v44, 15, v0                                  // 0000000046C4: 2658008F
	v_lshlrev_b32_e32 v44, 3, v44                              // 0000000046C8: 24585883
	ds_read_b64 v[96:97], v44 offset:16640                     // 0000000046CC: D8EC4100 6000002C
	ds_read_b64 v[98:99], v44 offset:16768                     // 0000000046D4: D8EC4180 6200002C
	ds_read_b64 v[100:101], v44 offset:16896                   // 0000000046DC: D8EC4200 6400002C
	ds_read_b64 v[102:103], v44 offset:17024                   // 0000000046E4: D8EC4280 6600002C
	ds_read_b64 v[104:105], v44 offset:17152                   // 0000000046EC: D8EC4300 6800002C
	ds_read_b64 v[106:107], v44 offset:17280                   // 0000000046F4: D8EC4380 6A00002C
	ds_read_b64 v[108:109], v44 offset:17408                   // 0000000046FC: D8EC4400 6C00002C
	ds_read_b64 v[110:111], v44 offset:17536                   // 000000004704: D8EC4480 6E00002C
	ds_read_b64 v[112:113], v44 offset:17664                   // 00000000470C: D8EC4500 7000002C
	ds_read_b64 v[114:115], v44 offset:17792                   // 000000004714: D8EC4580 7200002C
	ds_read_b64 v[116:117], v44 offset:17920                   // 00000000471C: D8EC4600 7400002C
	ds_read_b64 v[118:119], v44 offset:18048                   // 000000004724: D8EC4680 7600002C
	ds_read_b64 v[120:121], v44 offset:18176                   // 00000000472C: D8EC4700 7800002C
	ds_read_b64 v[122:123], v44 offset:18304                   // 000000004734: D8EC4780 7A00002C
	ds_read_b64 v[124:125], v44 offset:18432                   // 00000000473C: D8EC4800 7C00002C
	ds_read_b64 v[126:127], v44 offset:18560                   // 000000004744: D8EC4880 7E00002C
	s_waitcnt lgkmcnt(0)                                       // 00000000474C: BF8CC07F
	v_max3_f32 v20, |v96|, |v98|, v20                          // 000000004750: D1D30314 0452C560
	v_max3_f32 v21, |v97|, |v99|, v21                          // 000000004758: D1D30315 0456C761
	v_max3_f32 v20, |v100|, |v102|, v20                        // 000000004760: D1D30314 0452CD64
	v_max3_f32 v21, |v101|, |v103|, v21                        // 000000004768: D1D30315 0456CF65
	v_max3_f32 v20, |v104|, |v106|, v20                        // 000000004770: D1D30314 0452D568
	v_max3_f32 v21, |v105|, |v107|, v21                        // 000000004778: D1D30315 0456D769
	v_max3_f32 v20, |v108|, |v110|, v20                        // 000000004780: D1D30314 0452DD6C
	v_max3_f32 v21, |v109|, |v111|, v21                        // 000000004788: D1D30315 0456DF6D
	v_max3_f32 v20, |v112|, |v114|, v20                        // 000000004790: D1D30314 0452E570
	v_max3_f32 v21, |v113|, |v115|, v21                        // 000000004798: D1D30315 0456E771
	v_max3_f32 v20, |v116|, |v118|, v20                        // 0000000047A0: D1D30314 0452ED74
	v_max3_f32 v21, |v117|, |v119|, v21                        // 0000000047A8: D1D30315 0456EF75
	v_max3_f32 v20, |v120|, |v122|, v20                        // 0000000047B0: D1D30314 0452F578
	v_max3_f32 v21, |v121|, |v123|, v21                        // 0000000047B8: D1D30315 0456F779
	v_max3_f32 v20, |v124|, |v126|, v20                        // 0000000047C0: D1D30314 0452FD7C
	v_max3_f32 v21, |v125|, |v127|, v21                        // 0000000047C8: D1D30315 0456FF7D
	v_rcp_f32_e32 v20, v20                                     // 0000000047D0: 7E284514
	v_rcp_f32_e32 v21, v21                                     // 0000000047D4: 7E2A4515
	v_mul_f32_e32 v20, 0x42fe0000, v20                         // 0000000047D8: 0A2828FF 42FE0000
	v_mul_f32_e32 v21, 0x42fe0000, v21                         // 0000000047E0: 0A2A2AFF 42FE0000
	v_mul_f32_e32 v128, v20, v128                              // 0000000047E8: 0B010114
	v_mul_f32_e32 v129, v20, v129                              // 0000000047EC: 0B030314
	v_mul_f32_e32 v130, v20, v130                              // 0000000047F0: 0B050514
	v_mul_f32_e32 v131, v20, v131                              // 0000000047F4: 0B070714
	v_cvt_i32_f32_e32 v128, v128                               // 0000000047F8: 7F001180
	v_cvt_i32_f32_e32 v129, v129                               // 0000000047FC: 7F021181
	v_cvt_i32_f32_e32 v130, v130                               // 000000004800: 7F041182
	v_cvt_i32_f32_e32 v131, v131                               // 000000004804: 7F061183
	v_perm_b32 v128, v129, v128, s53                           // 000000004808: D1ED0080 00D70181
	v_perm_b32 v128, v130, v128, s54                           // 000000004810: D1ED0080 00DB0182
	v_perm_b32 v128, v131, v128, s55                           // 000000004818: D1ED0080 00DF0183
	v_mul_f32_e32 v132, v21, v132                              // 000000004820: 0B090915
	v_mul_f32_e32 v133, v21, v133                              // 000000004824: 0B0B0B15
	v_mul_f32_e32 v134, v21, v134                              // 000000004828: 0B0D0D15
	v_mul_f32_e32 v135, v21, v135                              // 00000000482C: 0B0F0F15
	v_cvt_i32_f32_e32 v132, v132                               // 000000004830: 7F081184
	v_cvt_i32_f32_e32 v133, v133                               // 000000004834: 7F0A1185
	v_cvt_i32_f32_e32 v134, v134                               // 000000004838: 7F0C1186
	v_cvt_i32_f32_e32 v135, v135                               // 00000000483C: 7F0E1187
	v_perm_b32 v129, v133, v132, s53                           // 000000004840: D1ED0081 00D70985
	v_perm_b32 v129, v134, v129, s54                           // 000000004848: D1ED0081 00DB0386
	v_perm_b32 v129, v135, v129, s55                           // 000000004850: D1ED0081 00DF0387
	v_mul_f32_e32 v136, v20, v136                              // 000000004858: 0B111114
	v_mul_f32_e32 v137, v20, v137                              // 00000000485C: 0B131314
	v_mul_f32_e32 v138, v20, v138                              // 000000004860: 0B151514
	v_mul_f32_e32 v139, v20, v139                              // 000000004864: 0B171714
	v_cvt_i32_f32_e32 v136, v136                               // 000000004868: 7F101188
	v_cvt_i32_f32_e32 v137, v137                               // 00000000486C: 7F121189
	v_cvt_i32_f32_e32 v138, v138                               // 000000004870: 7F14118A
	v_cvt_i32_f32_e32 v139, v139                               // 000000004874: 7F16118B
	v_perm_b32 v130, v137, v136, s53                           // 000000004878: D1ED0082 00D71189
	v_perm_b32 v130, v138, v130, s54                           // 000000004880: D1ED0082 00DB058A
	v_perm_b32 v130, v139, v130, s55                           // 000000004888: D1ED0082 00DF058B
	v_mul_f32_e32 v140, v21, v140                              // 000000004890: 0B191915
	v_mul_f32_e32 v141, v21, v141                              // 000000004894: 0B1B1B15
	v_mul_f32_e32 v142, v21, v142                              // 000000004898: 0B1D1D15
	v_mul_f32_e32 v143, v21, v143                              // 00000000489C: 0B1F1F15
	v_cvt_i32_f32_e32 v140, v140                               // 0000000048A0: 7F18118C
	v_cvt_i32_f32_e32 v141, v141                               // 0000000048A4: 7F1A118D
	v_cvt_i32_f32_e32 v142, v142                               // 0000000048A8: 7F1C118E
	v_cvt_i32_f32_e32 v143, v143                               // 0000000048AC: 7F1E118F
	v_perm_b32 v131, v141, v140, s53                           // 0000000048B0: D1ED0083 00D7198D
	v_perm_b32 v131, v142, v131, s54                           // 0000000048B8: D1ED0083 00DB078E
	v_perm_b32 v131, v143, v131, s55                           // 0000000048C0: D1ED0083 00DF078F
	v_mul_f32_e32 v144, v20, v144                              // 0000000048C8: 0B212114
	v_mul_f32_e32 v145, v20, v145                              // 0000000048CC: 0B232314
	v_mul_f32_e32 v146, v20, v146                              // 0000000048D0: 0B252514
	v_mul_f32_e32 v147, v20, v147                              // 0000000048D4: 0B272714
	v_cvt_i32_f32_e32 v144, v144                               // 0000000048D8: 7F201190
	v_cvt_i32_f32_e32 v145, v145                               // 0000000048DC: 7F221191
	v_cvt_i32_f32_e32 v146, v146                               // 0000000048E0: 7F241192
	v_cvt_i32_f32_e32 v147, v147                               // 0000000048E4: 7F261193
	v_perm_b32 v132, v145, v144, s53                           // 0000000048E8: D1ED0084 00D72191
	v_perm_b32 v132, v146, v132, s54                           // 0000000048F0: D1ED0084 00DB0992
	v_perm_b32 v132, v147, v132, s55                           // 0000000048F8: D1ED0084 00DF0993
	v_mul_f32_e32 v148, v21, v148                              // 000000004900: 0B292915
	v_mul_f32_e32 v149, v21, v149                              // 000000004904: 0B2B2B15
	v_mul_f32_e32 v150, v21, v150                              // 000000004908: 0B2D2D15
	v_mul_f32_e32 v151, v21, v151                              // 00000000490C: 0B2F2F15
	v_cvt_i32_f32_e32 v148, v148                               // 000000004910: 7F281194
	v_cvt_i32_f32_e32 v149, v149                               // 000000004914: 7F2A1195
	v_cvt_i32_f32_e32 v150, v150                               // 000000004918: 7F2C1196
	v_cvt_i32_f32_e32 v151, v151                               // 00000000491C: 7F2E1197
	v_perm_b32 v133, v149, v148, s53                           // 000000004920: D1ED0085 00D72995
	v_perm_b32 v133, v150, v133, s54                           // 000000004928: D1ED0085 00DB0B96
	v_perm_b32 v133, v151, v133, s55                           // 000000004930: D1ED0085 00DF0B97
	v_rcp_f32_e32 v22, v20                                     // 000000004938: 7E2C4514
	v_rcp_f32_e32 v23, v21                                     // 00000000493C: 7E2E4515
	v_lshrrev_b32_e32 v44, 5, v0                               // 000000004940: 20580085
	v_lshlrev_b32_e32 v45, 5, v44                              // 000000004944: 245A5885
	v_and_b32_e32 v44, 31, v0                                  // 000000004948: 2658009F
	v_lshrrev_b32_e32 v46, 4, v44                              // 00000000494C: 205C5884
	v_add_u32_e32 v45, v46, v45                                // 000000004950: 685A5B2E
	v_and_b32_e32 v44, 15, v0                                  // 000000004954: 2658008F
	v_lshlrev_b32_e32 v44, 1, v44                              // 000000004958: 24585881
	v_add_u32_e32 v45, v44, v45                                // 00000000495C: 685A5B2C
	v_lshlrev_b32_e32 v44, 2, v45                              // 000000004960: 24585A82
	s_mul_i32 s60, 0x100, s7                                   // 000000004964: 923C07FF 00000100
	v_add_u32_e64 v44, v44, s60                                // 00000000496C: D134002C 0000792C
	ds_write_b32 v44, v128 offset:18688                        // 000000004974: D81A4900 0000802C
	ds_write_b32 v44, v129 offset:21760                        // 00000000497C: D81A5500 0000812C
	ds_write_b32 v44, v130 offset:19712                        // 000000004984: D81A4D00 0000822C
	ds_write_b32 v44, v131 offset:22784                        // 00000000498C: D81A5900 0000832C
	ds_write_b32 v44, v132 offset:20736                        // 000000004994: D81A5100 0000842C
	ds_write_b32 v44, v133 offset:23808                        // 00000000499C: D81A5D00 0000852C
	s_waitcnt lgkmcnt(0)                                       // 0000000049A4: BF8CC07F
	s_barrier                                                  // 0000000049A8: BF8A0000
	v_lshrrev_b32_e32 v44, 4, v0                               // 0000000049AC: 20580084
	v_lshlrev_b32_e32 v45, 6, v44                              // 0000000049B0: 245A5886
	v_and_b32_e32 v44, 15, v0                                  // 0000000049B4: 2658008F
	v_lshlrev_b32_e32 v44, 1, v44                              // 0000000049B8: 24585881
	v_add_u32_e32 v45, v44, v45                                // 0000000049BC: 685A5B2C
	v_lshlrev_b32_e32 v44, 2, v45                              // 0000000049C0: 24585A82
	ds_read_b64 v[128:129], v44 offset:18688                   // 0000000049C4: D8EC4900 8000002C
	ds_read_b64 v[130:131], v44 offset:18816                   // 0000000049CC: D8EC4980 8200002C
	ds_read_b64 v[132:133], v44 offset:19712                   // 0000000049D4: D8EC4D00 8400002C
	ds_read_b64 v[134:135], v44 offset:19840                   // 0000000049DC: D8EC4D80 8600002C
	ds_read_b64 v[136:137], v44 offset:20736                   // 0000000049E4: D8EC5100 8800002C
	ds_read_b64 v[138:139], v44 offset:20864                   // 0000000049EC: D8EC5180 8A00002C
	ds_read_b64 v[140:141], v44 offset:21760                   // 0000000049F4: D8EC5500 8C00002C
	ds_read_b64 v[142:143], v44 offset:21888                   // 0000000049FC: D8EC5580 8E00002C
	ds_read_b64 v[144:145], v44 offset:22784                   // 000000004A04: D8EC5900 9000002C
	ds_read_b64 v[146:147], v44 offset:22912                   // 000000004A0C: D8EC5980 9200002C
	ds_read_b64 v[148:149], v44 offset:23808                   // 000000004A14: D8EC5D00 9400002C
	ds_read_b64 v[150:151], v44 offset:23936                   // 000000004A1C: D8EC5D80 9600002C
	s_add_u32 s12, s56, s12                                    // 000000004A24: 800C0C38
	s_addc_u32 s13, 0, s13                                     // 000000004A28: 820D0D80
	s_add_u32 s16, s79, s16                                    // 000000004A2C: 8010104F
	s_addc_u32 s17, 0, s17                                     // 000000004A30: 82111180
	s_mov_b32 s80, 0                                           // 000000004A34: BED00080
	s_waitcnt vmcnt(0) expcnt(0) lgkmcnt(0)                    // 000000004A38: BF8C0000

0000000000004a3c <label_07CF>:
	s_waitcnt vmcnt(25)                                        // 000000004A3C: BF8C4F79
	s_barrier                                                  // 000000004A40: BF8A0000
	v_mfma_i32_16x16x32_i8 v[152:155], a[0:1], v[128:129], 0   // 000000004A44: D3D70098 0A030100
	v_mfma_i32_16x16x32_i8 v[152:155], a[2:3], v[130:131], v[152:155]// 000000004A4C: D3D70098 0E630502
	buffer_load_dwordx4 a[48:51], v35, s[12:15], 0 offen       // 000000004A54: E05C1000 80833023
	v_mfma_i32_16x16x32_i8 v[156:159], a[0:1], v[140:141], 0   // 000000004A5C: D3D7009C 0A031900
	v_mfma_i32_16x16x32_i8 v[156:159], a[2:3], v[142:143], v[156:159]// 000000004A64: D3D7009C 0E731D02
	v_mfma_i32_16x16x32_i8 v[160:163], a[4:5], v[128:129], 0   // 000000004A6C: D3D700A0 0A030104
	v_mfma_i32_16x16x32_i8 v[160:163], a[6:7], v[130:131], v[160:163]// 000000004A74: D3D700A0 0E830506
	buffer_load_dwordx4 a[52:55], v36, s[12:15], 0 offen       // 000000004A7C: E05C1000 80833424
	v_mfma_i32_16x16x32_i8 v[164:167], a[4:5], v[140:141], 0   // 000000004A84: D3D700A4 0A031904
	v_mfma_i32_16x16x32_i8 v[164:167], a[6:7], v[142:143], v[164:167]// 000000004A8C: D3D700A4 0E931D06
	v_mfma_i32_16x16x32_i8 v[168:171], a[8:9], v[128:129], 0   // 000000004A94: D3D700A8 0A030108
	v_mfma_i32_16x16x32_i8 v[168:171], a[10:11], v[130:131], v[168:171]// 000000004A9C: D3D700A8 0EA3050A
	buffer_load_dwordx4 a[56:59], v37, s[12:15], 0 offen       // 000000004AA4: E05C1000 80833825
	v_mfma_i32_16x16x32_i8 v[172:175], a[8:9], v[140:141], 0   // 000000004AAC: D3D700AC 0A031908
	v_mfma_i32_16x16x32_i8 v[172:175], a[10:11], v[142:143], v[172:175]// 000000004AB4: D3D700AC 0EB31D0A
	v_mfma_i32_16x16x32_i8 v[176:179], a[12:13], v[128:129], 0 // 000000004ABC: D3D700B0 0A03010C
	v_mfma_i32_16x16x32_i8 v[176:179], a[14:15], v[130:131], v[176:179]// 000000004AC4: D3D700B0 0EC3050E
	buffer_load_dwordx4 a[60:63], v38, s[12:15], 0 offen       // 000000004ACC: E05C1000 80833C26
	s_add_u32 s12, s78, s12                                    // 000000004AD4: 800C0C4E
	s_addc_u32 s13, 0, s13                                     // 000000004AD8: 820D0D80
	v_mfma_i32_16x16x32_i8 v[180:183], a[12:13], v[140:141], 0 // 000000004ADC: D3D700B4 0A03190C
	v_mfma_i32_16x16x32_i8 v[180:183], a[14:15], v[142:143], v[180:183]// 000000004AE4: D3D700B4 0ED31D0E
	s_waitcnt vmcnt(25)                                        // 000000004AEC: BF8C4F79
	v_mfma_i32_16x16x32_i8 v[152:155], a[16:17], v[132:133], v[152:155]// 000000004AF0: D3D70098 0E630910
	v_mfma_i32_16x16x32_i8 v[152:155], a[18:19], v[134:135], v[152:155]// 000000004AF8: D3D70098 0E630D12
	buffer_load_dwordx4 a[64:67], v35, s[12:15], 0 offen       // 000000004B00: E05C1000 80834023
	v_mfma_i32_16x16x32_i8 v[156:159], a[16:17], v[144:145], v[156:159]// 000000004B08: D3D7009C 0E732110
	v_mfma_i32_16x16x32_i8 v[156:159], a[18:19], v[146:147], v[156:159]// 000000004B10: D3D7009C 0E732512
	v_mfma_i32_16x16x32_i8 v[160:163], a[20:21], v[132:133], v[160:163]// 000000004B18: D3D700A0 0E830914
	v_mfma_i32_16x16x32_i8 v[160:163], a[22:23], v[134:135], v[160:163]// 000000004B20: D3D700A0 0E830D16
	buffer_load_dwordx4 a[68:71], v36, s[12:15], 0 offen       // 000000004B28: E05C1000 80834424
	v_mfma_i32_16x16x32_i8 v[164:167], a[20:21], v[144:145], v[164:167]// 000000004B30: D3D700A4 0E932114
	v_mfma_i32_16x16x32_i8 v[164:167], a[22:23], v[146:147], v[164:167]// 000000004B38: D3D700A4 0E932516
	v_mfma_i32_16x16x32_i8 v[168:171], a[24:25], v[132:133], v[168:171]// 000000004B40: D3D700A8 0EA30918
	v_mfma_i32_16x16x32_i8 v[168:171], a[26:27], v[134:135], v[168:171]// 000000004B48: D3D700A8 0EA30D1A
	buffer_load_dwordx4 a[72:75], v37, s[12:15], 0 offen       // 000000004B50: E05C1000 80834825
	v_mfma_i32_16x16x32_i8 v[172:175], a[24:25], v[144:145], v[172:175]// 000000004B58: D3D700AC 0EB32118
	v_mfma_i32_16x16x32_i8 v[172:175], a[26:27], v[146:147], v[172:175]// 000000004B60: D3D700AC 0EB3251A
	v_mfma_i32_16x16x32_i8 v[176:179], a[28:29], v[132:133], v[176:179]// 000000004B68: D3D700B0 0EC3091C
	v_mfma_i32_16x16x32_i8 v[176:179], a[30:31], v[134:135], v[176:179]// 000000004B70: D3D700B0 0EC30D1E
	buffer_load_dwordx4 a[76:79], v38, s[12:15], 0 offen       // 000000004B78: E05C1000 80834C26
	s_add_u32 s12, s78, s12                                    // 000000004B80: 800C0C4E
	s_addc_u32 s13, 0, s13                                     // 000000004B84: 820D0D80
	v_mfma_i32_16x16x32_i8 v[180:183], a[28:29], v[144:145], v[180:183]// 000000004B88: D3D700B4 0ED3211C
	v_mfma_i32_16x16x32_i8 v[180:183], a[30:31], v[146:147], v[180:183]// 000000004B90: D3D700B4 0ED3251E
	s_waitcnt vmcnt(24)                                        // 000000004B98: BF8C4F78
	v_mfma_i32_16x16x32_i8 v[152:155], a[32:33], v[136:137], v[152:155]// 000000004B9C: D3D70098 0E631120
	v_mfma_i32_16x16x32_i8 v[152:155], a[34:35], v[138:139], v[152:155]// 000000004BA4: D3D70098 0E631522
	buffer_load_dwordx4 a[80:83], v35, s[12:15], 0 offen       // 000000004BAC: E05C1000 80835023
	v_mfma_i32_16x16x32_i8 v[156:159], a[32:33], v[148:149], v[156:159]// 000000004BB4: D3D7009C 0E732920
	v_mfma_i32_16x16x32_i8 v[156:159], a[34:35], v[150:151], v[156:159]// 000000004BBC: D3D7009C 0E732D22
	buffer_load_dword v12, v5, s[16:19], 0 offen               // 000000004BC4: E0501000 80040C05
	v_mfma_i32_16x16x32_i8 v[160:163], a[36:37], v[136:137], v[160:163]// 000000004BCC: D3D700A0 0E831124
	v_mfma_i32_16x16x32_i8 v[160:163], a[38:39], v[138:139], v[160:163]// 000000004BD4: D3D700A0 0E831526
	buffer_load_dwordx4 a[84:87], v36, s[12:15], 0 offen       // 000000004BDC: E05C1000 80835424
	v_mfma_i32_16x16x32_i8 v[164:167], a[36:37], v[148:149], v[164:167]// 000000004BE4: D3D700A4 0E932924
	v_mfma_i32_16x16x32_i8 v[164:167], a[38:39], v[150:151], v[164:167]// 000000004BEC: D3D700A4 0E932D26
	v_mfma_i32_16x16x32_i8 v[168:171], a[40:41], v[136:137], v[168:171]// 000000004BF4: D3D700A8 0EA31128
	v_mfma_i32_16x16x32_i8 v[168:171], a[42:43], v[138:139], v[168:171]// 000000004BFC: D3D700A8 0EA3152A
	buffer_load_dwordx4 a[88:91], v37, s[12:15], 0 offen       // 000000004C04: E05C1000 80835825
	v_mfma_i32_16x16x32_i8 v[172:175], a[40:41], v[148:149], v[172:175]// 000000004C0C: D3D700AC 0EB32928
	v_mfma_i32_16x16x32_i8 v[172:175], a[42:43], v[150:151], v[172:175]// 000000004C14: D3D700AC 0EB32D2A
	v_mfma_i32_16x16x32_i8 v[176:179], a[44:45], v[136:137], v[176:179]// 000000004C1C: D3D700B0 0EC3112C
	v_mfma_i32_16x16x32_i8 v[176:179], a[46:47], v[138:139], v[176:179]// 000000004C24: D3D700B0 0EC3152E
	buffer_load_dwordx4 a[92:95], v38, s[12:15], 0 offen       // 000000004C2C: E05C1000 80835C26
	v_mfma_i32_16x16x32_i8 v[180:183], a[44:45], v[148:149], v[180:183]// 000000004C34: D3D700B4 0ED3292C
	v_mfma_i32_16x16x32_i8 v[180:183], a[46:47], v[150:151], v[180:183]// 000000004C3C: D3D700B4 0ED32D2E
	s_add_u32 s60, 0x200, s80                                  // 000000004C44: 803C50FF 00000200
	s_cmp_lt_u32 s60, s81                                      // 000000004C4C: BF0A513C
	s_cselect_b32 s56, s56, 0                                  // 000000004C50: 85388038
	s_cselect_b32 s78, s78, 0                                  // 000000004C54: 854E804E
	s_cselect_b32 s79, s79, 0                                  // 000000004C58: 854F804F
	s_add_u32 s12, s56, s12                                    // 000000004C5C: 800C0C38
	s_addc_u32 s13, 0, s13                                     // 000000004C60: 820D0D80
	s_add_u32 s16, s79, s16                                    // 000000004C64: 8010104F
	s_addc_u32 s17, 0, s17                                     // 000000004C68: 82111180
	v_cvt_f32_i32_e32 v152, v152                               // 000000004C6C: 7F300B98
	v_cvt_f32_i32_e32 v153, v153                               // 000000004C70: 7F320B99
	v_cvt_f32_i32_e32 v154, v154                               // 000000004C74: 7F340B9A
	v_cvt_f32_i32_e32 v155, v155                               // 000000004C78: 7F360B9B
	v_mul_f32_e32 v152, v22, v152                              // 000000004C7C: 0B313116
	v_mul_f32_e32 v153, v22, v153                              // 000000004C80: 0B333316
	v_mul_f32_e32 v154, v22, v154                              // 000000004C84: 0B353516
	v_mul_f32_e32 v155, v22, v155                              // 000000004C88: 0B373716
	v_mul_f32_dpp v152, v11, v152 row_newbcast:0 row_mask:0xf bank_mask:0xf// 000000004C8C: 0B3130FA FF01500B
	v_mul_f32_dpp v153, v11, v153 row_newbcast:1 row_mask:0xf bank_mask:0xf// 000000004C94: 0B3332FA FF01510B
	v_mul_f32_dpp v154, v11, v154 row_newbcast:2 row_mask:0xf bank_mask:0xf// 000000004C9C: 0B3534FA FF01520B
	v_mul_f32_dpp v155, v11, v155 row_newbcast:3 row_mask:0xf bank_mask:0xf// 000000004CA4: 0B3736FA FF01530B
	v_mul_f32_e32 v152, v17, v152                              // 000000004CAC: 0B313111
	v_mul_f32_e32 v153, v17, v153                              // 000000004CB0: 0B333311
	v_mul_f32_e32 v154, v17, v154                              // 000000004CB4: 0B353511
	v_mul_f32_e32 v155, v17, v155                              // 000000004CB8: 0B373711
	v_cvt_f32_i32_e32 v156, v156                               // 000000004CBC: 7F380B9C
	v_cvt_f32_i32_e32 v157, v157                               // 000000004CC0: 7F3A0B9D
	v_cvt_f32_i32_e32 v158, v158                               // 000000004CC4: 7F3C0B9E
	v_cvt_f32_i32_e32 v159, v159                               // 000000004CC8: 7F3E0B9F
	v_mul_f32_e32 v156, v23, v156                              // 000000004CCC: 0B393917
	v_mul_f32_e32 v157, v23, v157                              // 000000004CD0: 0B3B3B17
	v_mul_f32_e32 v158, v23, v158                              // 000000004CD4: 0B3D3D17
	v_mul_f32_e32 v159, v23, v159                              // 000000004CD8: 0B3F3F17
	v_mul_f32_dpp v156, v11, v156 row_newbcast:0 row_mask:0xf bank_mask:0xf// 000000004CDC: 0B3938FA FF01500B
	v_mul_f32_dpp v157, v11, v157 row_newbcast:1 row_mask:0xf bank_mask:0xf// 000000004CE4: 0B3B3AFA FF01510B
	v_mul_f32_dpp v158, v11, v158 row_newbcast:2 row_mask:0xf bank_mask:0xf// 000000004CEC: 0B3D3CFA FF01520B
	v_mul_f32_dpp v159, v11, v159 row_newbcast:3 row_mask:0xf bank_mask:0xf// 000000004CF4: 0B3F3EFA FF01530B
	v_mul_f32_e32 v156, v18, v156                              // 000000004CFC: 0B393912
	v_mul_f32_e32 v157, v18, v157                              // 000000004D00: 0B3B3B12
	v_mul_f32_e32 v158, v18, v158                              // 000000004D04: 0B3D3D12
	v_mul_f32_e32 v159, v18, v159                              // 000000004D08: 0B3F3F12
	v_cvt_f32_i32_e32 v160, v160                               // 000000004D0C: 7F400BA0
	v_cvt_f32_i32_e32 v161, v161                               // 000000004D10: 7F420BA1
	v_cvt_f32_i32_e32 v162, v162                               // 000000004D14: 7F440BA2
	v_cvt_f32_i32_e32 v163, v163                               // 000000004D18: 7F460BA3
	v_mul_f32_e32 v160, v22, v160                              // 000000004D1C: 0B414116
	v_mul_f32_e32 v161, v22, v161                              // 000000004D20: 0B434316
	v_mul_f32_e32 v162, v22, v162                              // 000000004D24: 0B454516
	v_mul_f32_e32 v163, v22, v163                              // 000000004D28: 0B474716
	v_mul_f32_dpp v160, v11, v160 row_newbcast:4 row_mask:0xf bank_mask:0xf// 000000004D2C: 0B4140FA FF01540B
	v_mul_f32_dpp v161, v11, v161 row_newbcast:5 row_mask:0xf bank_mask:0xf// 000000004D34: 0B4342FA FF01550B
	v_mul_f32_dpp v162, v11, v162 row_newbcast:6 row_mask:0xf bank_mask:0xf// 000000004D3C: 0B4544FA FF01560B
	v_mul_f32_dpp v163, v11, v163 row_newbcast:7 row_mask:0xf bank_mask:0xf// 000000004D44: 0B4746FA FF01570B
	v_mul_f32_e32 v160, v17, v160                              // 000000004D4C: 0B414111
	v_mul_f32_e32 v161, v17, v161                              // 000000004D50: 0B434311
	v_mul_f32_e32 v162, v17, v162                              // 000000004D54: 0B454511
	v_mul_f32_e32 v163, v17, v163                              // 000000004D58: 0B474711
	v_cvt_f32_i32_e32 v164, v164                               // 000000004D5C: 7F480BA4
	v_cvt_f32_i32_e32 v165, v165                               // 000000004D60: 7F4A0BA5
	v_cvt_f32_i32_e32 v166, v166                               // 000000004D64: 7F4C0BA6
	v_cvt_f32_i32_e32 v167, v167                               // 000000004D68: 7F4E0BA7
	v_mul_f32_e32 v164, v23, v164                              // 000000004D6C: 0B494917
	v_mul_f32_e32 v165, v23, v165                              // 000000004D70: 0B4B4B17
	v_mul_f32_e32 v166, v23, v166                              // 000000004D74: 0B4D4D17
	v_mul_f32_e32 v167, v23, v167                              // 000000004D78: 0B4F4F17
	v_mul_f32_dpp v164, v11, v164 row_newbcast:4 row_mask:0xf bank_mask:0xf// 000000004D7C: 0B4948FA FF01540B
	v_mul_f32_dpp v165, v11, v165 row_newbcast:5 row_mask:0xf bank_mask:0xf// 000000004D84: 0B4B4AFA FF01550B
	v_mul_f32_dpp v166, v11, v166 row_newbcast:6 row_mask:0xf bank_mask:0xf// 000000004D8C: 0B4D4CFA FF01560B
	v_mul_f32_dpp v167, v11, v167 row_newbcast:7 row_mask:0xf bank_mask:0xf// 000000004D94: 0B4F4EFA FF01570B
	v_mul_f32_e32 v164, v18, v164                              // 000000004D9C: 0B494912
	v_mul_f32_e32 v165, v18, v165                              // 000000004DA0: 0B4B4B12
	v_mul_f32_e32 v166, v18, v166                              // 000000004DA4: 0B4D4D12
	v_mul_f32_e32 v167, v18, v167                              // 000000004DA8: 0B4F4F12
	v_cvt_f32_i32_e32 v168, v168                               // 000000004DAC: 7F500BA8
	v_cvt_f32_i32_e32 v169, v169                               // 000000004DB0: 7F520BA9
	v_cvt_f32_i32_e32 v170, v170                               // 000000004DB4: 7F540BAA
	v_cvt_f32_i32_e32 v171, v171                               // 000000004DB8: 7F560BAB
	v_mul_f32_e32 v168, v22, v168                              // 000000004DBC: 0B515116
	v_mul_f32_e32 v169, v22, v169                              // 000000004DC0: 0B535316
	v_mul_f32_e32 v170, v22, v170                              // 000000004DC4: 0B555516
	v_mul_f32_e32 v171, v22, v171                              // 000000004DC8: 0B575716
	v_mul_f32_dpp v168, v11, v168 row_newbcast:8 row_mask:0xf bank_mask:0xf// 000000004DCC: 0B5150FA FF01580B
	v_mul_f32_dpp v169, v11, v169 row_newbcast:9 row_mask:0xf bank_mask:0xf// 000000004DD4: 0B5352FA FF01590B
	v_mul_f32_dpp v170, v11, v170 row_newbcast:10 row_mask:0xf bank_mask:0xf// 000000004DDC: 0B5554FA FF015A0B
	v_mul_f32_dpp v171, v11, v171 row_newbcast:11 row_mask:0xf bank_mask:0xf// 000000004DE4: 0B5756FA FF015B0B
	v_mul_f32_e32 v168, v17, v168                              // 000000004DEC: 0B515111
	v_mul_f32_e32 v169, v17, v169                              // 000000004DF0: 0B535311
	v_mul_f32_e32 v170, v17, v170                              // 000000004DF4: 0B555511
	v_mul_f32_e32 v171, v17, v171                              // 000000004DF8: 0B575711
	v_cvt_f32_i32_e32 v172, v172                               // 000000004DFC: 7F580BAC
	v_cvt_f32_i32_e32 v173, v173                               // 000000004E00: 7F5A0BAD
	v_cvt_f32_i32_e32 v174, v174                               // 000000004E04: 7F5C0BAE
	v_cvt_f32_i32_e32 v175, v175                               // 000000004E08: 7F5E0BAF
	v_mul_f32_e32 v172, v23, v172                              // 000000004E0C: 0B595917
	v_mul_f32_e32 v173, v23, v173                              // 000000004E10: 0B5B5B17
	v_mul_f32_e32 v174, v23, v174                              // 000000004E14: 0B5D5D17
	v_mul_f32_e32 v175, v23, v175                              // 000000004E18: 0B5F5F17
	v_mul_f32_dpp v172, v11, v172 row_newbcast:8 row_mask:0xf bank_mask:0xf// 000000004E1C: 0B5958FA FF01580B
	v_mul_f32_dpp v173, v11, v173 row_newbcast:9 row_mask:0xf bank_mask:0xf// 000000004E24: 0B5B5AFA FF01590B
	v_mul_f32_dpp v174, v11, v174 row_newbcast:10 row_mask:0xf bank_mask:0xf// 000000004E2C: 0B5D5CFA FF015A0B
	v_mul_f32_dpp v175, v11, v175 row_newbcast:11 row_mask:0xf bank_mask:0xf// 000000004E34: 0B5F5EFA FF015B0B
	v_mul_f32_e32 v172, v18, v172                              // 000000004E3C: 0B595912
	v_mul_f32_e32 v173, v18, v173                              // 000000004E40: 0B5B5B12
	v_mul_f32_e32 v174, v18, v174                              // 000000004E44: 0B5D5D12
	v_mul_f32_e32 v175, v18, v175                              // 000000004E48: 0B5F5F12
	v_cvt_f32_i32_e32 v176, v176                               // 000000004E4C: 7F600BB0
	v_cvt_f32_i32_e32 v177, v177                               // 000000004E50: 7F620BB1
	v_cvt_f32_i32_e32 v178, v178                               // 000000004E54: 7F640BB2
	v_cvt_f32_i32_e32 v179, v179                               // 000000004E58: 7F660BB3
	v_mul_f32_e32 v176, v22, v176                              // 000000004E5C: 0B616116
	v_mul_f32_e32 v177, v22, v177                              // 000000004E60: 0B636316
	v_mul_f32_e32 v178, v22, v178                              // 000000004E64: 0B656516
	v_mul_f32_e32 v179, v22, v179                              // 000000004E68: 0B676716
	v_mul_f32_dpp v176, v11, v176 row_newbcast:12 row_mask:0xf bank_mask:0xf// 000000004E6C: 0B6160FA FF015C0B
	v_mul_f32_dpp v177, v11, v177 row_newbcast:13 row_mask:0xf bank_mask:0xf// 000000004E74: 0B6362FA FF015D0B
	v_mul_f32_dpp v178, v11, v178 row_newbcast:14 row_mask:0xf bank_mask:0xf// 000000004E7C: 0B6564FA FF015E0B
	v_mul_f32_dpp v179, v11, v179 row_newbcast:15 row_mask:0xf bank_mask:0xf// 000000004E84: 0B6766FA FF015F0B
	v_mul_f32_e32 v176, v17, v176                              // 000000004E8C: 0B616111
	v_mul_f32_e32 v177, v17, v177                              // 000000004E90: 0B636311
	v_mul_f32_e32 v178, v17, v178                              // 000000004E94: 0B656511
	v_mul_f32_e32 v179, v17, v179                              // 000000004E98: 0B676711
	v_cvt_f32_i32_e32 v180, v180                               // 000000004E9C: 7F680BB4
	v_cvt_f32_i32_e32 v181, v181                               // 000000004EA0: 7F6A0BB5
	v_cvt_f32_i32_e32 v182, v182                               // 000000004EA4: 7F6C0BB6
	v_cvt_f32_i32_e32 v183, v183                               // 000000004EA8: 7F6E0BB7
	v_mul_f32_e32 v180, v23, v180                              // 000000004EAC: 0B696917
	v_mul_f32_e32 v181, v23, v181                              // 000000004EB0: 0B6B6B17
	v_mul_f32_e32 v182, v23, v182                              // 000000004EB4: 0B6D6D17
	v_mul_f32_e32 v183, v23, v183                              // 000000004EB8: 0B6F6F17
	v_mul_f32_dpp v180, v11, v180 row_newbcast:12 row_mask:0xf bank_mask:0xf// 000000004EBC: 0B6968FA FF015C0B
	v_mul_f32_dpp v181, v11, v181 row_newbcast:13 row_mask:0xf bank_mask:0xf// 000000004EC4: 0B6B6AFA FF015D0B
	v_mul_f32_dpp v182, v11, v182 row_newbcast:14 row_mask:0xf bank_mask:0xf// 000000004ECC: 0B6D6CFA FF015E0B
	v_mul_f32_dpp v183, v11, v183 row_newbcast:15 row_mask:0xf bank_mask:0xf// 000000004ED4: 0B6F6EFA FF015F0B
	v_mul_f32_e32 v180, v18, v180                              // 000000004EDC: 0B696912
	v_mul_f32_e32 v181, v18, v181                              // 000000004EE0: 0B6B6B12
	v_mul_f32_e32 v182, v18, v182                              // 000000004EE4: 0B6D6D12
	v_mul_f32_e32 v183, v18, v183                              // 000000004EE8: 0B6F6F12
	v_cmp_u_f32_e64 s[48:49], v152, v152                       // 000000004EEC: D0480030 00033198
	v_add3_u32 v39, v152, v42, 1                               // 000000004EF4: D1FF0027 02065598
	v_cndmask_b32_e64 v44, v39, v41, s[48:49]                  // 000000004EFC: D100002C 00C25327
	v_cmp_u_f32_e64 s[48:49], v153, v153                       // 000000004F04: D0480030 00033399
	v_add3_u32 v39, v153, v42, 1                               // 000000004F0C: D1FF0027 02065599
	v_cndmask_b32_e64 v45, v39, v41, s[48:49]                  // 000000004F14: D100002D 00C25327
	v_perm_b32 v152, v45, v44, s52                             // 000000004F1C: D1ED0098 00D2592D
	v_cmp_u_f32_e64 s[48:49], v154, v154                       // 000000004F24: D0480030 0003359A
	v_add3_u32 v39, v154, v42, 1                               // 000000004F2C: D1FF0027 0206559A
	v_cndmask_b32_e64 v44, v39, v41, s[48:49]                  // 000000004F34: D100002C 00C25327
	v_cmp_u_f32_e64 s[48:49], v155, v155                       // 000000004F3C: D0480030 0003379B
	v_add3_u32 v39, v155, v42, 1                               // 000000004F44: D1FF0027 0206559B
	v_cndmask_b32_e64 v45, v39, v41, s[48:49]                  // 000000004F4C: D100002D 00C25327
	v_perm_b32 v153, v45, v44, s52                             // 000000004F54: D1ED0099 00D2592D
	v_cmp_u_f32_e64 s[48:49], v156, v156                       // 000000004F5C: D0480030 0003399C
	v_add3_u32 v39, v156, v42, 1                               // 000000004F64: D1FF0027 0206559C
	v_cndmask_b32_e64 v44, v39, v41, s[48:49]                  // 000000004F6C: D100002C 00C25327
	v_cmp_u_f32_e64 s[48:49], v157, v157                       // 000000004F74: D0480030 00033B9D
	v_add3_u32 v39, v157, v42, 1                               // 000000004F7C: D1FF0027 0206559D
	v_cndmask_b32_e64 v45, v39, v41, s[48:49]                  // 000000004F84: D100002D 00C25327
	v_perm_b32 v154, v45, v44, s52                             // 000000004F8C: D1ED009A 00D2592D
	v_cmp_u_f32_e64 s[48:49], v158, v158                       // 000000004F94: D0480030 00033D9E
	v_add3_u32 v39, v158, v42, 1                               // 000000004F9C: D1FF0027 0206559E
	v_cndmask_b32_e64 v44, v39, v41, s[48:49]                  // 000000004FA4: D100002C 00C25327
	v_cmp_u_f32_e64 s[48:49], v159, v159                       // 000000004FAC: D0480030 00033F9F
	v_add3_u32 v39, v159, v42, 1                               // 000000004FB4: D1FF0027 0206559F
	v_cndmask_b32_e64 v45, v39, v41, s[48:49]                  // 000000004FBC: D100002D 00C25327
	v_perm_b32 v155, v45, v44, s52                             // 000000004FC4: D1ED009B 00D2592D
	v_cmp_u_f32_e64 s[48:49], v160, v160                       // 000000004FCC: D0480030 000341A0
	v_add3_u32 v39, v160, v42, 1                               // 000000004FD4: D1FF0027 020655A0
	v_cndmask_b32_e64 v44, v39, v41, s[48:49]                  // 000000004FDC: D100002C 00C25327
	v_cmp_u_f32_e64 s[48:49], v161, v161                       // 000000004FE4: D0480030 000343A1
	v_add3_u32 v39, v161, v42, 1                               // 000000004FEC: D1FF0027 020655A1
	v_cndmask_b32_e64 v45, v39, v41, s[48:49]                  // 000000004FF4: D100002D 00C25327
	v_perm_b32 v156, v45, v44, s52                             // 000000004FFC: D1ED009C 00D2592D
	v_cmp_u_f32_e64 s[48:49], v162, v162                       // 000000005004: D0480030 000345A2
	v_add3_u32 v39, v162, v42, 1                               // 00000000500C: D1FF0027 020655A2
	v_cndmask_b32_e64 v44, v39, v41, s[48:49]                  // 000000005014: D100002C 00C25327
	v_cmp_u_f32_e64 s[48:49], v163, v163                       // 00000000501C: D0480030 000347A3
	v_add3_u32 v39, v163, v42, 1                               // 000000005024: D1FF0027 020655A3
	v_cndmask_b32_e64 v45, v39, v41, s[48:49]                  // 00000000502C: D100002D 00C25327
	v_perm_b32 v157, v45, v44, s52                             // 000000005034: D1ED009D 00D2592D
	v_cmp_u_f32_e64 s[48:49], v164, v164                       // 00000000503C: D0480030 000349A4
	v_add3_u32 v39, v164, v42, 1                               // 000000005044: D1FF0027 020655A4
	v_cndmask_b32_e64 v44, v39, v41, s[48:49]                  // 00000000504C: D100002C 00C25327
	v_cmp_u_f32_e64 s[48:49], v165, v165                       // 000000005054: D0480030 00034BA5
	v_add3_u32 v39, v165, v42, 1                               // 00000000505C: D1FF0027 020655A5
	v_cndmask_b32_e64 v45, v39, v41, s[48:49]                  // 000000005064: D100002D 00C25327
	v_perm_b32 v158, v45, v44, s52                             // 00000000506C: D1ED009E 00D2592D
	v_cmp_u_f32_e64 s[48:49], v166, v166                       // 000000005074: D0480030 00034DA6
	v_add3_u32 v39, v166, v42, 1                               // 00000000507C: D1FF0027 020655A6
	v_cndmask_b32_e64 v44, v39, v41, s[48:49]                  // 000000005084: D100002C 00C25327
	v_cmp_u_f32_e64 s[48:49], v167, v167                       // 00000000508C: D0480030 00034FA7
	v_add3_u32 v39, v167, v42, 1                               // 000000005094: D1FF0027 020655A7
	v_cndmask_b32_e64 v45, v39, v41, s[48:49]                  // 00000000509C: D100002D 00C25327
	v_perm_b32 v159, v45, v44, s52                             // 0000000050A4: D1ED009F 00D2592D
	v_cmp_u_f32_e64 s[48:49], v168, v168                       // 0000000050AC: D0480030 000351A8
	v_add3_u32 v39, v168, v42, 1                               // 0000000050B4: D1FF0027 020655A8
	v_cndmask_b32_e64 v44, v39, v41, s[48:49]                  // 0000000050BC: D100002C 00C25327
	v_cmp_u_f32_e64 s[48:49], v169, v169                       // 0000000050C4: D0480030 000353A9
	v_add3_u32 v39, v169, v42, 1                               // 0000000050CC: D1FF0027 020655A9
	v_cndmask_b32_e64 v45, v39, v41, s[48:49]                  // 0000000050D4: D100002D 00C25327
	v_perm_b32 v160, v45, v44, s52                             // 0000000050DC: D1ED00A0 00D2592D
	v_cmp_u_f32_e64 s[48:49], v170, v170                       // 0000000050E4: D0480030 000355AA
	v_add3_u32 v39, v170, v42, 1                               // 0000000050EC: D1FF0027 020655AA
	v_cndmask_b32_e64 v44, v39, v41, s[48:49]                  // 0000000050F4: D100002C 00C25327
	v_cmp_u_f32_e64 s[48:49], v171, v171                       // 0000000050FC: D0480030 000357AB
	v_add3_u32 v39, v171, v42, 1                               // 000000005104: D1FF0027 020655AB
	v_cndmask_b32_e64 v45, v39, v41, s[48:49]                  // 00000000510C: D100002D 00C25327
	v_perm_b32 v161, v45, v44, s52                             // 000000005114: D1ED00A1 00D2592D
	v_cmp_u_f32_e64 s[48:49], v172, v172                       // 00000000511C: D0480030 000359AC
	v_add3_u32 v39, v172, v42, 1                               // 000000005124: D1FF0027 020655AC
	v_cndmask_b32_e64 v44, v39, v41, s[48:49]                  // 00000000512C: D100002C 00C25327
	v_cmp_u_f32_e64 s[48:49], v173, v173                       // 000000005134: D0480030 00035BAD
	v_add3_u32 v39, v173, v42, 1                               // 00000000513C: D1FF0027 020655AD
	v_cndmask_b32_e64 v45, v39, v41, s[48:49]                  // 000000005144: D100002D 00C25327
	v_perm_b32 v162, v45, v44, s52                             // 00000000514C: D1ED00A2 00D2592D
	v_cmp_u_f32_e64 s[48:49], v174, v174                       // 000000005154: D0480030 00035DAE
	v_add3_u32 v39, v174, v42, 1                               // 00000000515C: D1FF0027 020655AE
	v_cndmask_b32_e64 v44, v39, v41, s[48:49]                  // 000000005164: D100002C 00C25327
	v_cmp_u_f32_e64 s[48:49], v175, v175                       // 00000000516C: D0480030 00035FAF
	v_add3_u32 v39, v175, v42, 1                               // 000000005174: D1FF0027 020655AF
	v_cndmask_b32_e64 v45, v39, v41, s[48:49]                  // 00000000517C: D100002D 00C25327
	v_perm_b32 v163, v45, v44, s52                             // 000000005184: D1ED00A3 00D2592D
	v_cmp_u_f32_e64 s[48:49], v176, v176                       // 00000000518C: D0480030 000361B0
	v_add3_u32 v39, v176, v42, 1                               // 000000005194: D1FF0027 020655B0
	v_cndmask_b32_e64 v44, v39, v41, s[48:49]                  // 00000000519C: D100002C 00C25327
	v_cmp_u_f32_e64 s[48:49], v177, v177                       // 0000000051A4: D0480030 000363B1
	v_add3_u32 v39, v177, v42, 1                               // 0000000051AC: D1FF0027 020655B1
	v_cndmask_b32_e64 v45, v39, v41, s[48:49]                  // 0000000051B4: D100002D 00C25327
	v_perm_b32 v164, v45, v44, s52                             // 0000000051BC: D1ED00A4 00D2592D
	v_cmp_u_f32_e64 s[48:49], v178, v178                       // 0000000051C4: D0480030 000365B2
	v_add3_u32 v39, v178, v42, 1                               // 0000000051CC: D1FF0027 020655B2
	v_cndmask_b32_e64 v44, v39, v41, s[48:49]                  // 0000000051D4: D100002C 00C25327
	v_cmp_u_f32_e64 s[48:49], v179, v179                       // 0000000051DC: D0480030 000367B3
	v_add3_u32 v39, v179, v42, 1                               // 0000000051E4: D1FF0027 020655B3
	v_cndmask_b32_e64 v45, v39, v41, s[48:49]                  // 0000000051EC: D100002D 00C25327
	v_perm_b32 v165, v45, v44, s52                             // 0000000051F4: D1ED00A5 00D2592D
	v_cmp_u_f32_e64 s[48:49], v180, v180                       // 0000000051FC: D0480030 000369B4
	v_add3_u32 v39, v180, v42, 1                               // 000000005204: D1FF0027 020655B4
	v_cndmask_b32_e64 v44, v39, v41, s[48:49]                  // 00000000520C: D100002C 00C25327
	v_cmp_u_f32_e64 s[48:49], v181, v181                       // 000000005214: D0480030 00036BB5
	v_add3_u32 v39, v181, v42, 1                               // 00000000521C: D1FF0027 020655B5
	v_cndmask_b32_e64 v45, v39, v41, s[48:49]                  // 000000005224: D100002D 00C25327
	v_perm_b32 v166, v45, v44, s52                             // 00000000522C: D1ED00A6 00D2592D
	v_cmp_u_f32_e64 s[48:49], v182, v182                       // 000000005234: D0480030 00036DB6
	v_add3_u32 v39, v182, v42, 1                               // 00000000523C: D1FF0027 020655B6
	v_cndmask_b32_e64 v44, v39, v41, s[48:49]                  // 000000005244: D100002C 00C25327
	v_cmp_u_f32_e64 s[48:49], v183, v183                       // 00000000524C: D0480030 00036FB7
	v_add3_u32 v39, v183, v42, 1                               // 000000005254: D1FF0027 020655B7
	v_cndmask_b32_e64 v45, v39, v41, s[48:49]                  // 00000000525C: D100002D 00C25327
	v_perm_b32 v167, v45, v44, s52                             // 000000005264: D1ED00A7 00D2592D
	ds_write_b64 v3, v[152:153] offset:24832                   // 00000000526C: D89A6100 00009803
	ds_write_b64 v3, v[154:155] offset:33536                   // 000000005274: D89A8300 00009A03
	ds_write_b64 v3, v[156:157] offset:27008                   // 00000000527C: D89A6980 00009C03
	ds_write_b64 v3, v[158:159] offset:35712                   // 000000005284: D89A8B80 00009E03
	ds_write_b64 v3, v[160:161] offset:29184                   // 00000000528C: D89A7200 0000A003
	ds_write_b64 v3, v[162:163] offset:37888                   // 000000005294: D89A9400 0000A203
	ds_write_b64 v3, v[164:165] offset:31360                   // 00000000529C: D89A7A80 0000A403
	ds_write_b64 v3, v[166:167] offset:40064                   // 0000000052A4: D89A9C80 0000A603
	s_waitcnt lgkmcnt(0)                                       // 0000000052AC: BF8CC07F
	s_barrier                                                  // 0000000052B0: BF8A0000
	ds_read_b32 v64, v4 offset:24832                           // 0000000052B4: D86C6100 40000004
	ds_read_b32 v65, v4 offset:29184                           // 0000000052BC: D86C7200 41000004
	ds_read_b32 v66, v4 offset:24864                           // 0000000052C4: D86C6120 42000004
	ds_read_b32 v67, v4 offset:29216                           // 0000000052CC: D86C7220 43000004
	ds_read_b32 v68, v4 offset:24896                           // 0000000052D4: D86C6140 44000004
	ds_read_b32 v69, v4 offset:29248                           // 0000000052DC: D86C7240 45000004
	ds_read_b32 v70, v4 offset:24928                           // 0000000052E4: D86C6160 46000004
	ds_read_b32 v71, v4 offset:29280                           // 0000000052EC: D86C7260 47000004
	ds_read_b32 v72, v4 offset:33536                           // 0000000052F4: D86C8300 48000004
	ds_read_b32 v73, v4 offset:37888                           // 0000000052FC: D86C9400 49000004
	ds_read_b32 v74, v4 offset:33568                           // 000000005304: D86C8320 4A000004
	ds_read_b32 v75, v4 offset:37920                           // 00000000530C: D86C9420 4B000004
	ds_read_b32 v76, v4 offset:33600                           // 000000005314: D86C8340 4C000004
	ds_read_b32 v77, v4 offset:37952                           // 00000000531C: D86C9440 4D000004
	ds_read_b32 v78, v4 offset:33632                           // 000000005324: D86C8360 4E000004
	ds_read_b32 v79, v4 offset:37984                           // 00000000532C: D86C9460 4F000004
	s_waitcnt lgkmcnt(0)                                       // 000000005334: BF8CC07F
	s_mov_b64 exec, s[20:21]                                   // 000000005338: BEFE0114
	global_atomic_pk_add_bf16 v80, v64, s[8:9]                 // 00000000533C: DD488000 00084050
	s_mov_b64 exec, s[36:37]                                   // 000000005344: BEFE0124
	s_mov_b64 exec, s[20:21]                                   // 000000005348: BEFE0114
	global_atomic_pk_add_bf16 v80, v65, s[8:9] offset:256      // 00000000534C: DD488100 00084150
	s_mov_b64 exec, s[36:37]                                   // 000000005354: BEFE0124
	s_mov_b64 exec, s[22:23]                                   // 000000005358: BEFE0116
	global_atomic_pk_add_bf16 v82, v66, s[8:9]                 // 00000000535C: DD488000 00084252
	s_mov_b64 exec, s[36:37]                                   // 000000005364: BEFE0124
	s_mov_b64 exec, s[22:23]                                   // 000000005368: BEFE0116
	global_atomic_pk_add_bf16 v82, v67, s[8:9] offset:256      // 00000000536C: DD488100 00084352
	s_mov_b64 exec, s[36:37]                                   // 000000005374: BEFE0124
	s_mov_b64 exec, s[24:25]                                   // 000000005378: BEFE0118
	global_atomic_pk_add_bf16 v84, v68, s[8:9]                 // 00000000537C: DD488000 00084454
	s_mov_b64 exec, s[36:37]                                   // 000000005384: BEFE0124
	s_mov_b64 exec, s[24:25]                                   // 000000005388: BEFE0118
	global_atomic_pk_add_bf16 v84, v69, s[8:9] offset:256      // 00000000538C: DD488100 00084554
	s_mov_b64 exec, s[36:37]                                   // 000000005394: BEFE0124
	s_mov_b64 exec, s[26:27]                                   // 000000005398: BEFE011A
	global_atomic_pk_add_bf16 v86, v70, s[8:9]                 // 00000000539C: DD488000 00084656
	s_mov_b64 exec, s[36:37]                                   // 0000000053A4: BEFE0124
	s_mov_b64 exec, s[26:27]                                   // 0000000053A8: BEFE011A
	global_atomic_pk_add_bf16 v86, v71, s[8:9] offset:256      // 0000000053AC: DD488100 00084756
	s_mov_b64 exec, s[36:37]                                   // 0000000053B4: BEFE0124
	s_mov_b64 exec, s[28:29]                                   // 0000000053B8: BEFE011C
	global_atomic_pk_add_bf16 v88, v72, s[8:9]                 // 0000000053BC: DD488000 00084858
	s_mov_b64 exec, s[36:37]                                   // 0000000053C4: BEFE0124
	s_mov_b64 exec, s[28:29]                                   // 0000000053C8: BEFE011C
	global_atomic_pk_add_bf16 v88, v73, s[8:9] offset:256      // 0000000053CC: DD488100 00084958
	s_mov_b64 exec, s[36:37]                                   // 0000000053D4: BEFE0124
	s_mov_b64 exec, s[30:31]                                   // 0000000053D8: BEFE011E
	global_atomic_pk_add_bf16 v90, v74, s[8:9]                 // 0000000053DC: DD488000 00084A5A
	s_mov_b64 exec, s[36:37]                                   // 0000000053E4: BEFE0124
	s_mov_b64 exec, s[30:31]                                   // 0000000053E8: BEFE011E
	global_atomic_pk_add_bf16 v90, v75, s[8:9] offset:256      // 0000000053EC: DD488100 00084B5A
	s_mov_b64 exec, s[36:37]                                   // 0000000053F4: BEFE0124
	s_mov_b64 exec, s[32:33]                                   // 0000000053F8: BEFE0120
	global_atomic_pk_add_bf16 v92, v76, s[8:9]                 // 0000000053FC: DD488000 00084C5C
	s_mov_b64 exec, s[36:37]                                   // 000000005404: BEFE0124
	s_mov_b64 exec, s[32:33]                                   // 000000005408: BEFE0120
	global_atomic_pk_add_bf16 v92, v77, s[8:9] offset:256      // 00000000540C: DD488100 00084D5C
	s_mov_b64 exec, s[36:37]                                   // 000000005414: BEFE0124
	s_mov_b64 exec, s[34:35]                                   // 000000005418: BEFE0122
	global_atomic_pk_add_bf16 v94, v78, s[8:9]                 // 00000000541C: DD488000 00084E5E
	s_mov_b64 exec, s[36:37]                                   // 000000005424: BEFE0124
	s_mov_b64 exec, s[34:35]                                   // 000000005428: BEFE0122
	global_atomic_pk_add_bf16 v94, v79, s[8:9] offset:256      // 00000000542C: DD488100 00084F5E
	s_mov_b64 exec, s[36:37]                                   // 000000005434: BEFE0124
	s_add_u32 s8, s59, s8                                      // 000000005438: 8008083B
	s_addc_u32 s9, 0, s9                                       // 00000000543C: 82090980
	s_addk_i32 s80, 0x100                                      // 000000005440: B7500100
	s_cmp_lt_i32 s80, s81                                      // 000000005444: BF045150
	s_cbranch_scc0 label_0CD8                                  // 000000005448: BF840285
	s_waitcnt vmcnt(25)                                        // 00000000544C: BF8C4F79
	s_barrier                                                  // 000000005450: BF8A0000
	v_mfma_i32_16x16x32_i8 v[184:187], a[48:49], v[128:129], 0 // 000000005454: D3D700B8 0A030130
	v_mfma_i32_16x16x32_i8 v[184:187], a[50:51], v[130:131], v[184:187]// 00000000545C: D3D700B8 0EE30532
	buffer_load_dwordx4 a[0:3], v35, s[12:15], 0 offen         // 000000005464: E05C1000 80830023
	v_mfma_i32_16x16x32_i8 v[188:191], a[48:49], v[140:141], 0 // 00000000546C: D3D700BC 0A031930
	v_mfma_i32_16x16x32_i8 v[188:191], a[50:51], v[142:143], v[188:191]// 000000005474: D3D700BC 0EF31D32
	v_mfma_i32_16x16x32_i8 v[192:195], a[52:53], v[128:129], 0 // 00000000547C: D3D700C0 0A030134
	v_mfma_i32_16x16x32_i8 v[192:195], a[54:55], v[130:131], v[192:195]// 000000005484: D3D700C0 0F030536
	buffer_load_dwordx4 a[4:7], v36, s[12:15], 0 offen         // 00000000548C: E05C1000 80830424
	v_mfma_i32_16x16x32_i8 v[196:199], a[52:53], v[140:141], 0 // 000000005494: D3D700C4 0A031934
	v_mfma_i32_16x16x32_i8 v[196:199], a[54:55], v[142:143], v[196:199]// 00000000549C: D3D700C4 0F131D36
	v_mfma_i32_16x16x32_i8 v[200:203], a[56:57], v[128:129], 0 // 0000000054A4: D3D700C8 0A030138
	v_mfma_i32_16x16x32_i8 v[200:203], a[58:59], v[130:131], v[200:203]// 0000000054AC: D3D700C8 0F23053A
	buffer_load_dwordx4 a[8:11], v37, s[12:15], 0 offen        // 0000000054B4: E05C1000 80830825
	v_mfma_i32_16x16x32_i8 v[204:207], a[56:57], v[140:141], 0 // 0000000054BC: D3D700CC 0A031938
	v_mfma_i32_16x16x32_i8 v[204:207], a[58:59], v[142:143], v[204:207]// 0000000054C4: D3D700CC 0F331D3A
	v_mfma_i32_16x16x32_i8 v[208:211], a[60:61], v[128:129], 0 // 0000000054CC: D3D700D0 0A03013C
	v_mfma_i32_16x16x32_i8 v[208:211], a[62:63], v[130:131], v[208:211]// 0000000054D4: D3D700D0 0F43053E
	buffer_load_dwordx4 a[12:15], v38, s[12:15], 0 offen       // 0000000054DC: E05C1000 80830C26
	s_add_u32 s12, s78, s12                                    // 0000000054E4: 800C0C4E
	s_addc_u32 s13, 0, s13                                     // 0000000054E8: 820D0D80
	v_mfma_i32_16x16x32_i8 v[212:215], a[60:61], v[140:141], 0 // 0000000054EC: D3D700D4 0A03193C
	v_mfma_i32_16x16x32_i8 v[212:215], a[62:63], v[142:143], v[212:215]// 0000000054F4: D3D700D4 0F531D3E
	s_waitcnt vmcnt(25)                                        // 0000000054FC: BF8C4F79
	v_mfma_i32_16x16x32_i8 v[184:187], a[64:65], v[132:133], v[184:187]// 000000005500: D3D700B8 0EE30940
	v_mfma_i32_16x16x32_i8 v[184:187], a[66:67], v[134:135], v[184:187]// 000000005508: D3D700B8 0EE30D42
	buffer_load_dwordx4 a[16:19], v35, s[12:15], 0 offen       // 000000005510: E05C1000 80831023
	v_mfma_i32_16x16x32_i8 v[188:191], a[64:65], v[144:145], v[188:191]// 000000005518: D3D700BC 0EF32140
	v_mfma_i32_16x16x32_i8 v[188:191], a[66:67], v[146:147], v[188:191]// 000000005520: D3D700BC 0EF32542
	v_mfma_i32_16x16x32_i8 v[192:195], a[68:69], v[132:133], v[192:195]// 000000005528: D3D700C0 0F030944
	v_mfma_i32_16x16x32_i8 v[192:195], a[70:71], v[134:135], v[192:195]// 000000005530: D3D700C0 0F030D46
	buffer_load_dwordx4 a[20:23], v36, s[12:15], 0 offen       // 000000005538: E05C1000 80831424
	v_mfma_i32_16x16x32_i8 v[196:199], a[68:69], v[144:145], v[196:199]// 000000005540: D3D700C4 0F132144
	v_mfma_i32_16x16x32_i8 v[196:199], a[70:71], v[146:147], v[196:199]// 000000005548: D3D700C4 0F132546
	v_mfma_i32_16x16x32_i8 v[200:203], a[72:73], v[132:133], v[200:203]// 000000005550: D3D700C8 0F230948
	v_mfma_i32_16x16x32_i8 v[200:203], a[74:75], v[134:135], v[200:203]// 000000005558: D3D700C8 0F230D4A
	buffer_load_dwordx4 a[24:27], v37, s[12:15], 0 offen       // 000000005560: E05C1000 80831825
	v_mfma_i32_16x16x32_i8 v[204:207], a[72:73], v[144:145], v[204:207]// 000000005568: D3D700CC 0F332148
	v_mfma_i32_16x16x32_i8 v[204:207], a[74:75], v[146:147], v[204:207]// 000000005570: D3D700CC 0F33254A
	v_mfma_i32_16x16x32_i8 v[208:211], a[76:77], v[132:133], v[208:211]// 000000005578: D3D700D0 0F43094C
	v_mfma_i32_16x16x32_i8 v[208:211], a[78:79], v[134:135], v[208:211]// 000000005580: D3D700D0 0F430D4E
	buffer_load_dwordx4 a[28:31], v38, s[12:15], 0 offen       // 000000005588: E05C1000 80831C26
	s_add_u32 s12, s78, s12                                    // 000000005590: 800C0C4E
	s_addc_u32 s13, 0, s13                                     // 000000005594: 820D0D80
	v_mfma_i32_16x16x32_i8 v[212:215], a[76:77], v[144:145], v[212:215]// 000000005598: D3D700D4 0F53214C
	v_mfma_i32_16x16x32_i8 v[212:215], a[78:79], v[146:147], v[212:215]// 0000000055A0: D3D700D4 0F53254E
	s_waitcnt vmcnt(24)                                        // 0000000055A8: BF8C4F78
	v_mfma_i32_16x16x32_i8 v[184:187], a[80:81], v[136:137], v[184:187]// 0000000055AC: D3D700B8 0EE31150
	v_mfma_i32_16x16x32_i8 v[184:187], a[82:83], v[138:139], v[184:187]// 0000000055B4: D3D700B8 0EE31552
	buffer_load_dwordx4 a[32:35], v35, s[12:15], 0 offen       // 0000000055BC: E05C1000 80832023
	v_mfma_i32_16x16x32_i8 v[188:191], a[80:81], v[148:149], v[188:191]// 0000000055C4: D3D700BC 0EF32950
	v_mfma_i32_16x16x32_i8 v[188:191], a[82:83], v[150:151], v[188:191]// 0000000055CC: D3D700BC 0EF32D52
	buffer_load_dword v11, v5, s[16:19], 0 offen               // 0000000055D4: E0501000 80040B05
	v_mfma_i32_16x16x32_i8 v[192:195], a[84:85], v[136:137], v[192:195]// 0000000055DC: D3D700C0 0F031154
	v_mfma_i32_16x16x32_i8 v[192:195], a[86:87], v[138:139], v[192:195]// 0000000055E4: D3D700C0 0F031556
	buffer_load_dwordx4 a[36:39], v36, s[12:15], 0 offen       // 0000000055EC: E05C1000 80832424
	v_mfma_i32_16x16x32_i8 v[196:199], a[84:85], v[148:149], v[196:199]// 0000000055F4: D3D700C4 0F132954
	v_mfma_i32_16x16x32_i8 v[196:199], a[86:87], v[150:151], v[196:199]// 0000000055FC: D3D700C4 0F132D56
	v_mfma_i32_16x16x32_i8 v[200:203], a[88:89], v[136:137], v[200:203]// 000000005604: D3D700C8 0F231158
	v_mfma_i32_16x16x32_i8 v[200:203], a[90:91], v[138:139], v[200:203]// 00000000560C: D3D700C8 0F23155A
	buffer_load_dwordx4 a[40:43], v37, s[12:15], 0 offen       // 000000005614: E05C1000 80832825
	v_mfma_i32_16x16x32_i8 v[204:207], a[88:89], v[148:149], v[204:207]// 00000000561C: D3D700CC 0F332958
	v_mfma_i32_16x16x32_i8 v[204:207], a[90:91], v[150:151], v[204:207]// 000000005624: D3D700CC 0F332D5A
	v_mfma_i32_16x16x32_i8 v[208:211], a[92:93], v[136:137], v[208:211]// 00000000562C: D3D700D0 0F43115C
	v_mfma_i32_16x16x32_i8 v[208:211], a[94:95], v[138:139], v[208:211]// 000000005634: D3D700D0 0F43155E
	buffer_load_dwordx4 a[44:47], v38, s[12:15], 0 offen       // 00000000563C: E05C1000 80832C26
	v_mfma_i32_16x16x32_i8 v[212:215], a[92:93], v[148:149], v[212:215]// 000000005644: D3D700D4 0F53295C
	v_mfma_i32_16x16x32_i8 v[212:215], a[94:95], v[150:151], v[212:215]// 00000000564C: D3D700D4 0F532D5E
	s_add_u32 s60, 0x200, s80                                  // 000000005654: 803C50FF 00000200
	s_cmp_lt_u32 s60, s81                                      // 00000000565C: BF0A513C
	s_cselect_b32 s56, s56, 0                                  // 000000005660: 85388038
	s_cselect_b32 s78, s78, 0                                  // 000000005664: 854E804E
	s_cselect_b32 s79, s79, 0                                  // 000000005668: 854F804F
	s_add_u32 s12, s56, s12                                    // 00000000566C: 800C0C38
	s_addc_u32 s13, 0, s13                                     // 000000005670: 820D0D80
	s_add_u32 s16, s79, s16                                    // 000000005674: 8010104F
	s_addc_u32 s17, 0, s17                                     // 000000005678: 82111180
	v_cvt_f32_i32_e32 v184, v184                               // 00000000567C: 7F700BB8
	v_cvt_f32_i32_e32 v185, v185                               // 000000005680: 7F720BB9
	v_cvt_f32_i32_e32 v186, v186                               // 000000005684: 7F740BBA
	v_cvt_f32_i32_e32 v187, v187                               // 000000005688: 7F760BBB
	v_mul_f32_e32 v184, v22, v184                              // 00000000568C: 0B717116
	v_mul_f32_e32 v185, v22, v185                              // 000000005690: 0B737316
	v_mul_f32_e32 v186, v22, v186                              // 000000005694: 0B757516
	v_mul_f32_e32 v187, v22, v187                              // 000000005698: 0B777716
	v_mul_f32_dpp v184, v12, v184 row_newbcast:0 row_mask:0xf bank_mask:0xf// 00000000569C: 0B7170FA FF01500C
	v_mul_f32_dpp v185, v12, v185 row_newbcast:1 row_mask:0xf bank_mask:0xf// 0000000056A4: 0B7372FA FF01510C
	v_mul_f32_dpp v186, v12, v186 row_newbcast:2 row_mask:0xf bank_mask:0xf// 0000000056AC: 0B7574FA FF01520C
	v_mul_f32_dpp v187, v12, v187 row_newbcast:3 row_mask:0xf bank_mask:0xf// 0000000056B4: 0B7776FA FF01530C
	v_mul_f32_e32 v184, v17, v184                              // 0000000056BC: 0B717111
	v_mul_f32_e32 v185, v17, v185                              // 0000000056C0: 0B737311
	v_mul_f32_e32 v186, v17, v186                              // 0000000056C4: 0B757511
	v_mul_f32_e32 v187, v17, v187                              // 0000000056C8: 0B777711
	v_cvt_f32_i32_e32 v188, v188                               // 0000000056CC: 7F780BBC
	v_cvt_f32_i32_e32 v189, v189                               // 0000000056D0: 7F7A0BBD
	v_cvt_f32_i32_e32 v190, v190                               // 0000000056D4: 7F7C0BBE
	v_cvt_f32_i32_e32 v191, v191                               // 0000000056D8: 7F7E0BBF
	v_mul_f32_e32 v188, v23, v188                              // 0000000056DC: 0B797917
	v_mul_f32_e32 v189, v23, v189                              // 0000000056E0: 0B7B7B17
	v_mul_f32_e32 v190, v23, v190                              // 0000000056E4: 0B7D7D17
	v_mul_f32_e32 v191, v23, v191                              // 0000000056E8: 0B7F7F17
	v_mul_f32_dpp v188, v12, v188 row_newbcast:0 row_mask:0xf bank_mask:0xf// 0000000056EC: 0B7978FA FF01500C
	v_mul_f32_dpp v189, v12, v189 row_newbcast:1 row_mask:0xf bank_mask:0xf// 0000000056F4: 0B7B7AFA FF01510C
	v_mul_f32_dpp v190, v12, v190 row_newbcast:2 row_mask:0xf bank_mask:0xf// 0000000056FC: 0B7D7CFA FF01520C
	v_mul_f32_dpp v191, v12, v191 row_newbcast:3 row_mask:0xf bank_mask:0xf// 000000005704: 0B7F7EFA FF01530C
	v_mul_f32_e32 v188, v18, v188                              // 00000000570C: 0B797912
	v_mul_f32_e32 v189, v18, v189                              // 000000005710: 0B7B7B12
	v_mul_f32_e32 v190, v18, v190                              // 000000005714: 0B7D7D12
	v_mul_f32_e32 v191, v18, v191                              // 000000005718: 0B7F7F12
	v_cvt_f32_i32_e32 v192, v192                               // 00000000571C: 7F800BC0
	v_cvt_f32_i32_e32 v193, v193                               // 000000005720: 7F820BC1
	v_cvt_f32_i32_e32 v194, v194                               // 000000005724: 7F840BC2
	v_cvt_f32_i32_e32 v195, v195                               // 000000005728: 7F860BC3
	v_mul_f32_e32 v192, v22, v192                              // 00000000572C: 0B818116
	v_mul_f32_e32 v193, v22, v193                              // 000000005730: 0B838316
	v_mul_f32_e32 v194, v22, v194                              // 000000005734: 0B858516
	v_mul_f32_e32 v195, v22, v195                              // 000000005738: 0B878716
	v_mul_f32_dpp v192, v12, v192 row_newbcast:4 row_mask:0xf bank_mask:0xf// 00000000573C: 0B8180FA FF01540C
	v_mul_f32_dpp v193, v12, v193 row_newbcast:5 row_mask:0xf bank_mask:0xf// 000000005744: 0B8382FA FF01550C
	v_mul_f32_dpp v194, v12, v194 row_newbcast:6 row_mask:0xf bank_mask:0xf// 00000000574C: 0B8584FA FF01560C
	v_mul_f32_dpp v195, v12, v195 row_newbcast:7 row_mask:0xf bank_mask:0xf// 000000005754: 0B8786FA FF01570C
	v_mul_f32_e32 v192, v17, v192                              // 00000000575C: 0B818111
	v_mul_f32_e32 v193, v17, v193                              // 000000005760: 0B838311
	v_mul_f32_e32 v194, v17, v194                              // 000000005764: 0B858511
	v_mul_f32_e32 v195, v17, v195                              // 000000005768: 0B878711
	v_cvt_f32_i32_e32 v196, v196                               // 00000000576C: 7F880BC4
	v_cvt_f32_i32_e32 v197, v197                               // 000000005770: 7F8A0BC5
	v_cvt_f32_i32_e32 v198, v198                               // 000000005774: 7F8C0BC6
	v_cvt_f32_i32_e32 v199, v199                               // 000000005778: 7F8E0BC7
	v_mul_f32_e32 v196, v23, v196                              // 00000000577C: 0B898917
	v_mul_f32_e32 v197, v23, v197                              // 000000005780: 0B8B8B17
	v_mul_f32_e32 v198, v23, v198                              // 000000005784: 0B8D8D17
	v_mul_f32_e32 v199, v23, v199                              // 000000005788: 0B8F8F17
	v_mul_f32_dpp v196, v12, v196 row_newbcast:4 row_mask:0xf bank_mask:0xf// 00000000578C: 0B8988FA FF01540C
	v_mul_f32_dpp v197, v12, v197 row_newbcast:5 row_mask:0xf bank_mask:0xf// 000000005794: 0B8B8AFA FF01550C
	v_mul_f32_dpp v198, v12, v198 row_newbcast:6 row_mask:0xf bank_mask:0xf// 00000000579C: 0B8D8CFA FF01560C
	v_mul_f32_dpp v199, v12, v199 row_newbcast:7 row_mask:0xf bank_mask:0xf// 0000000057A4: 0B8F8EFA FF01570C
	v_mul_f32_e32 v196, v18, v196                              // 0000000057AC: 0B898912
	v_mul_f32_e32 v197, v18, v197                              // 0000000057B0: 0B8B8B12
	v_mul_f32_e32 v198, v18, v198                              // 0000000057B4: 0B8D8D12
	v_mul_f32_e32 v199, v18, v199                              // 0000000057B8: 0B8F8F12
	v_cvt_f32_i32_e32 v200, v200                               // 0000000057BC: 7F900BC8
	v_cvt_f32_i32_e32 v201, v201                               // 0000000057C0: 7F920BC9
	v_cvt_f32_i32_e32 v202, v202                               // 0000000057C4: 7F940BCA
	v_cvt_f32_i32_e32 v203, v203                               // 0000000057C8: 7F960BCB
	v_mul_f32_e32 v200, v22, v200                              // 0000000057CC: 0B919116
	v_mul_f32_e32 v201, v22, v201                              // 0000000057D0: 0B939316
	v_mul_f32_e32 v202, v22, v202                              // 0000000057D4: 0B959516
	v_mul_f32_e32 v203, v22, v203                              // 0000000057D8: 0B979716
	v_mul_f32_dpp v200, v12, v200 row_newbcast:8 row_mask:0xf bank_mask:0xf// 0000000057DC: 0B9190FA FF01580C
	v_mul_f32_dpp v201, v12, v201 row_newbcast:9 row_mask:0xf bank_mask:0xf// 0000000057E4: 0B9392FA FF01590C
	v_mul_f32_dpp v202, v12, v202 row_newbcast:10 row_mask:0xf bank_mask:0xf// 0000000057EC: 0B9594FA FF015A0C
	v_mul_f32_dpp v203, v12, v203 row_newbcast:11 row_mask:0xf bank_mask:0xf// 0000000057F4: 0B9796FA FF015B0C
	v_mul_f32_e32 v200, v17, v200                              // 0000000057FC: 0B919111
	v_mul_f32_e32 v201, v17, v201                              // 000000005800: 0B939311
	v_mul_f32_e32 v202, v17, v202                              // 000000005804: 0B959511
	v_mul_f32_e32 v203, v17, v203                              // 000000005808: 0B979711
	v_cvt_f32_i32_e32 v204, v204                               // 00000000580C: 7F980BCC
	v_cvt_f32_i32_e32 v205, v205                               // 000000005810: 7F9A0BCD
	v_cvt_f32_i32_e32 v206, v206                               // 000000005814: 7F9C0BCE
	v_cvt_f32_i32_e32 v207, v207                               // 000000005818: 7F9E0BCF
	v_mul_f32_e32 v204, v23, v204                              // 00000000581C: 0B999917
	v_mul_f32_e32 v205, v23, v205                              // 000000005820: 0B9B9B17
	v_mul_f32_e32 v206, v23, v206                              // 000000005824: 0B9D9D17
	v_mul_f32_e32 v207, v23, v207                              // 000000005828: 0B9F9F17
	v_mul_f32_dpp v204, v12, v204 row_newbcast:8 row_mask:0xf bank_mask:0xf// 00000000582C: 0B9998FA FF01580C
	v_mul_f32_dpp v205, v12, v205 row_newbcast:9 row_mask:0xf bank_mask:0xf// 000000005834: 0B9B9AFA FF01590C
	v_mul_f32_dpp v206, v12, v206 row_newbcast:10 row_mask:0xf bank_mask:0xf// 00000000583C: 0B9D9CFA FF015A0C
	v_mul_f32_dpp v207, v12, v207 row_newbcast:11 row_mask:0xf bank_mask:0xf// 000000005844: 0B9F9EFA FF015B0C
	v_mul_f32_e32 v204, v18, v204                              // 00000000584C: 0B999912
	v_mul_f32_e32 v205, v18, v205                              // 000000005850: 0B9B9B12
	v_mul_f32_e32 v206, v18, v206                              // 000000005854: 0B9D9D12
	v_mul_f32_e32 v207, v18, v207                              // 000000005858: 0B9F9F12
	v_cvt_f32_i32_e32 v208, v208                               // 00000000585C: 7FA00BD0
	v_cvt_f32_i32_e32 v209, v209                               // 000000005860: 7FA20BD1
	v_cvt_f32_i32_e32 v210, v210                               // 000000005864: 7FA40BD2
	v_cvt_f32_i32_e32 v211, v211                               // 000000005868: 7FA60BD3
	v_mul_f32_e32 v208, v22, v208                              // 00000000586C: 0BA1A116
	v_mul_f32_e32 v209, v22, v209                              // 000000005870: 0BA3A316
	v_mul_f32_e32 v210, v22, v210                              // 000000005874: 0BA5A516
	v_mul_f32_e32 v211, v22, v211                              // 000000005878: 0BA7A716
	v_mul_f32_dpp v208, v12, v208 row_newbcast:12 row_mask:0xf bank_mask:0xf// 00000000587C: 0BA1A0FA FF015C0C
	v_mul_f32_dpp v209, v12, v209 row_newbcast:13 row_mask:0xf bank_mask:0xf// 000000005884: 0BA3A2FA FF015D0C
	v_mul_f32_dpp v210, v12, v210 row_newbcast:14 row_mask:0xf bank_mask:0xf// 00000000588C: 0BA5A4FA FF015E0C
	v_mul_f32_dpp v211, v12, v211 row_newbcast:15 row_mask:0xf bank_mask:0xf// 000000005894: 0BA7A6FA FF015F0C
	v_mul_f32_e32 v208, v17, v208                              // 00000000589C: 0BA1A111
	v_mul_f32_e32 v209, v17, v209                              // 0000000058A0: 0BA3A311
	v_mul_f32_e32 v210, v17, v210                              // 0000000058A4: 0BA5A511
	v_mul_f32_e32 v211, v17, v211                              // 0000000058A8: 0BA7A711
	v_cvt_f32_i32_e32 v212, v212                               // 0000000058AC: 7FA80BD4
	v_cvt_f32_i32_e32 v213, v213                               // 0000000058B0: 7FAA0BD5
	v_cvt_f32_i32_e32 v214, v214                               // 0000000058B4: 7FAC0BD6
	v_cvt_f32_i32_e32 v215, v215                               // 0000000058B8: 7FAE0BD7
	v_mul_f32_e32 v212, v23, v212                              // 0000000058BC: 0BA9A917
	v_mul_f32_e32 v213, v23, v213                              // 0000000058C0: 0BABAB17
	v_mul_f32_e32 v214, v23, v214                              // 0000000058C4: 0BADAD17
	v_mul_f32_e32 v215, v23, v215                              // 0000000058C8: 0BAFAF17
	v_mul_f32_dpp v212, v12, v212 row_newbcast:12 row_mask:0xf bank_mask:0xf// 0000000058CC: 0BA9A8FA FF015C0C
	v_mul_f32_dpp v213, v12, v213 row_newbcast:13 row_mask:0xf bank_mask:0xf// 0000000058D4: 0BABAAFA FF015D0C
	v_mul_f32_dpp v214, v12, v214 row_newbcast:14 row_mask:0xf bank_mask:0xf// 0000000058DC: 0BADACFA FF015E0C
	v_mul_f32_dpp v215, v12, v215 row_newbcast:15 row_mask:0xf bank_mask:0xf// 0000000058E4: 0BAFAEFA FF015F0C
	v_mul_f32_e32 v212, v18, v212                              // 0000000058EC: 0BA9A912
	v_mul_f32_e32 v213, v18, v213                              // 0000000058F0: 0BABAB12
	v_mul_f32_e32 v214, v18, v214                              // 0000000058F4: 0BADAD12
	v_mul_f32_e32 v215, v18, v215                              // 0000000058F8: 0BAFAF12
	v_cmp_u_f32_e64 s[48:49], v184, v184                       // 0000000058FC: D0480030 000371B8
	v_add3_u32 v39, v184, v42, 1                               // 000000005904: D1FF0027 020655B8
	v_cndmask_b32_e64 v44, v39, v41, s[48:49]                  // 00000000590C: D100002C 00C25327
	v_cmp_u_f32_e64 s[48:49], v185, v185                       // 000000005914: D0480030 000373B9
	v_add3_u32 v39, v185, v42, 1                               // 00000000591C: D1FF0027 020655B9
	v_cndmask_b32_e64 v45, v39, v41, s[48:49]                  // 000000005924: D100002D 00C25327
	v_perm_b32 v184, v45, v44, s52                             // 00000000592C: D1ED00B8 00D2592D
	v_cmp_u_f32_e64 s[48:49], v186, v186                       // 000000005934: D0480030 000375BA
	v_add3_u32 v39, v186, v42, 1                               // 00000000593C: D1FF0027 020655BA
	v_cndmask_b32_e64 v44, v39, v41, s[48:49]                  // 000000005944: D100002C 00C25327
	v_cmp_u_f32_e64 s[48:49], v187, v187                       // 00000000594C: D0480030 000377BB
	v_add3_u32 v39, v187, v42, 1                               // 000000005954: D1FF0027 020655BB
	v_cndmask_b32_e64 v45, v39, v41, s[48:49]                  // 00000000595C: D100002D 00C25327
	v_perm_b32 v185, v45, v44, s52                             // 000000005964: D1ED00B9 00D2592D
	v_cmp_u_f32_e64 s[48:49], v188, v188                       // 00000000596C: D0480030 000379BC
	v_add3_u32 v39, v188, v42, 1                               // 000000005974: D1FF0027 020655BC
	v_cndmask_b32_e64 v44, v39, v41, s[48:49]                  // 00000000597C: D100002C 00C25327
	v_cmp_u_f32_e64 s[48:49], v189, v189                       // 000000005984: D0480030 00037BBD
	v_add3_u32 v39, v189, v42, 1                               // 00000000598C: D1FF0027 020655BD
	v_cndmask_b32_e64 v45, v39, v41, s[48:49]                  // 000000005994: D100002D 00C25327
	v_perm_b32 v186, v45, v44, s52                             // 00000000599C: D1ED00BA 00D2592D
	v_cmp_u_f32_e64 s[48:49], v190, v190                       // 0000000059A4: D0480030 00037DBE
	v_add3_u32 v39, v190, v42, 1                               // 0000000059AC: D1FF0027 020655BE
	v_cndmask_b32_e64 v44, v39, v41, s[48:49]                  // 0000000059B4: D100002C 00C25327
	v_cmp_u_f32_e64 s[48:49], v191, v191                       // 0000000059BC: D0480030 00037FBF
	v_add3_u32 v39, v191, v42, 1                               // 0000000059C4: D1FF0027 020655BF
	v_cndmask_b32_e64 v45, v39, v41, s[48:49]                  // 0000000059CC: D100002D 00C25327
	v_perm_b32 v187, v45, v44, s52                             // 0000000059D4: D1ED00BB 00D2592D
	v_cmp_u_f32_e64 s[48:49], v192, v192                       // 0000000059DC: D0480030 000381C0
	v_add3_u32 v39, v192, v42, 1                               // 0000000059E4: D1FF0027 020655C0
	v_cndmask_b32_e64 v44, v39, v41, s[48:49]                  // 0000000059EC: D100002C 00C25327
	v_cmp_u_f32_e64 s[48:49], v193, v193                       // 0000000059F4: D0480030 000383C1
	v_add3_u32 v39, v193, v42, 1                               // 0000000059FC: D1FF0027 020655C1
	v_cndmask_b32_e64 v45, v39, v41, s[48:49]                  // 000000005A04: D100002D 00C25327
	v_perm_b32 v188, v45, v44, s52                             // 000000005A0C: D1ED00BC 00D2592D
	v_cmp_u_f32_e64 s[48:49], v194, v194                       // 000000005A14: D0480030 000385C2
	v_add3_u32 v39, v194, v42, 1                               // 000000005A1C: D1FF0027 020655C2
	v_cndmask_b32_e64 v44, v39, v41, s[48:49]                  // 000000005A24: D100002C 00C25327
	v_cmp_u_f32_e64 s[48:49], v195, v195                       // 000000005A2C: D0480030 000387C3
	v_add3_u32 v39, v195, v42, 1                               // 000000005A34: D1FF0027 020655C3
	v_cndmask_b32_e64 v45, v39, v41, s[48:49]                  // 000000005A3C: D100002D 00C25327
	v_perm_b32 v189, v45, v44, s52                             // 000000005A44: D1ED00BD 00D2592D
	v_cmp_u_f32_e64 s[48:49], v196, v196                       // 000000005A4C: D0480030 000389C4
	v_add3_u32 v39, v196, v42, 1                               // 000000005A54: D1FF0027 020655C4
	v_cndmask_b32_e64 v44, v39, v41, s[48:49]                  // 000000005A5C: D100002C 00C25327
	v_cmp_u_f32_e64 s[48:49], v197, v197                       // 000000005A64: D0480030 00038BC5
	v_add3_u32 v39, v197, v42, 1                               // 000000005A6C: D1FF0027 020655C5
	v_cndmask_b32_e64 v45, v39, v41, s[48:49]                  // 000000005A74: D100002D 00C25327
	v_perm_b32 v190, v45, v44, s52                             // 000000005A7C: D1ED00BE 00D2592D
	v_cmp_u_f32_e64 s[48:49], v198, v198                       // 000000005A84: D0480030 00038DC6
	v_add3_u32 v39, v198, v42, 1                               // 000000005A8C: D1FF0027 020655C6
	v_cndmask_b32_e64 v44, v39, v41, s[48:49]                  // 000000005A94: D100002C 00C25327
	v_cmp_u_f32_e64 s[48:49], v199, v199                       // 000000005A9C: D0480030 00038FC7
	v_add3_u32 v39, v199, v42, 1                               // 000000005AA4: D1FF0027 020655C7
	v_cndmask_b32_e64 v45, v39, v41, s[48:49]                  // 000000005AAC: D100002D 00C25327
	v_perm_b32 v191, v45, v44, s52                             // 000000005AB4: D1ED00BF 00D2592D
	v_cmp_u_f32_e64 s[48:49], v200, v200                       // 000000005ABC: D0480030 000391C8
	v_add3_u32 v39, v200, v42, 1                               // 000000005AC4: D1FF0027 020655C8
	v_cndmask_b32_e64 v44, v39, v41, s[48:49]                  // 000000005ACC: D100002C 00C25327
	v_cmp_u_f32_e64 s[48:49], v201, v201                       // 000000005AD4: D0480030 000393C9
	v_add3_u32 v39, v201, v42, 1                               // 000000005ADC: D1FF0027 020655C9
	v_cndmask_b32_e64 v45, v39, v41, s[48:49]                  // 000000005AE4: D100002D 00C25327
	v_perm_b32 v192, v45, v44, s52                             // 000000005AEC: D1ED00C0 00D2592D
	v_cmp_u_f32_e64 s[48:49], v202, v202                       // 000000005AF4: D0480030 000395CA
	v_add3_u32 v39, v202, v42, 1                               // 000000005AFC: D1FF0027 020655CA
	v_cndmask_b32_e64 v44, v39, v41, s[48:49]                  // 000000005B04: D100002C 00C25327
	v_cmp_u_f32_e64 s[48:49], v203, v203                       // 000000005B0C: D0480030 000397CB
	v_add3_u32 v39, v203, v42, 1                               // 000000005B14: D1FF0027 020655CB
	v_cndmask_b32_e64 v45, v39, v41, s[48:49]                  // 000000005B1C: D100002D 00C25327
	v_perm_b32 v193, v45, v44, s52                             // 000000005B24: D1ED00C1 00D2592D
	v_cmp_u_f32_e64 s[48:49], v204, v204                       // 000000005B2C: D0480030 000399CC
	v_add3_u32 v39, v204, v42, 1                               // 000000005B34: D1FF0027 020655CC
	v_cndmask_b32_e64 v44, v39, v41, s[48:49]                  // 000000005B3C: D100002C 00C25327
	v_cmp_u_f32_e64 s[48:49], v205, v205                       // 000000005B44: D0480030 00039BCD
	v_add3_u32 v39, v205, v42, 1                               // 000000005B4C: D1FF0027 020655CD
	v_cndmask_b32_e64 v45, v39, v41, s[48:49]                  // 000000005B54: D100002D 00C25327
	v_perm_b32 v194, v45, v44, s52                             // 000000005B5C: D1ED00C2 00D2592D
	v_cmp_u_f32_e64 s[48:49], v206, v206                       // 000000005B64: D0480030 00039DCE
	v_add3_u32 v39, v206, v42, 1                               // 000000005B6C: D1FF0027 020655CE
	v_cndmask_b32_e64 v44, v39, v41, s[48:49]                  // 000000005B74: D100002C 00C25327
	v_cmp_u_f32_e64 s[48:49], v207, v207                       // 000000005B7C: D0480030 00039FCF
	v_add3_u32 v39, v207, v42, 1                               // 000000005B84: D1FF0027 020655CF
	v_cndmask_b32_e64 v45, v39, v41, s[48:49]                  // 000000005B8C: D100002D 00C25327
	v_perm_b32 v195, v45, v44, s52                             // 000000005B94: D1ED00C3 00D2592D
	v_cmp_u_f32_e64 s[48:49], v208, v208                       // 000000005B9C: D0480030 0003A1D0
	v_add3_u32 v39, v208, v42, 1                               // 000000005BA4: D1FF0027 020655D0
	v_cndmask_b32_e64 v44, v39, v41, s[48:49]                  // 000000005BAC: D100002C 00C25327
	v_cmp_u_f32_e64 s[48:49], v209, v209                       // 000000005BB4: D0480030 0003A3D1
	v_add3_u32 v39, v209, v42, 1                               // 000000005BBC: D1FF0027 020655D1
	v_cndmask_b32_e64 v45, v39, v41, s[48:49]                  // 000000005BC4: D100002D 00C25327
	v_perm_b32 v196, v45, v44, s52                             // 000000005BCC: D1ED00C4 00D2592D
	v_cmp_u_f32_e64 s[48:49], v210, v210                       // 000000005BD4: D0480030 0003A5D2
	v_add3_u32 v39, v210, v42, 1                               // 000000005BDC: D1FF0027 020655D2
	v_cndmask_b32_e64 v44, v39, v41, s[48:49]                  // 000000005BE4: D100002C 00C25327
	v_cmp_u_f32_e64 s[48:49], v211, v211                       // 000000005BEC: D0480030 0003A7D3
	v_add3_u32 v39, v211, v42, 1                               // 000000005BF4: D1FF0027 020655D3
	v_cndmask_b32_e64 v45, v39, v41, s[48:49]                  // 000000005BFC: D100002D 00C25327
	v_perm_b32 v197, v45, v44, s52                             // 000000005C04: D1ED00C5 00D2592D
	v_cmp_u_f32_e64 s[48:49], v212, v212                       // 000000005C0C: D0480030 0003A9D4
	v_add3_u32 v39, v212, v42, 1                               // 000000005C14: D1FF0027 020655D4
	v_cndmask_b32_e64 v44, v39, v41, s[48:49]                  // 000000005C1C: D100002C 00C25327
	v_cmp_u_f32_e64 s[48:49], v213, v213                       // 000000005C24: D0480030 0003ABD5
	v_add3_u32 v39, v213, v42, 1                               // 000000005C2C: D1FF0027 020655D5
	v_cndmask_b32_e64 v45, v39, v41, s[48:49]                  // 000000005C34: D100002D 00C25327
	v_perm_b32 v198, v45, v44, s52                             // 000000005C3C: D1ED00C6 00D2592D
	v_cmp_u_f32_e64 s[48:49], v214, v214                       // 000000005C44: D0480030 0003ADD6
	v_add3_u32 v39, v214, v42, 1                               // 000000005C4C: D1FF0027 020655D6
	v_cndmask_b32_e64 v44, v39, v41, s[48:49]                  // 000000005C54: D100002C 00C25327
	v_cmp_u_f32_e64 s[48:49], v215, v215                       // 000000005C5C: D0480030 0003AFD7
	v_add3_u32 v39, v215, v42, 1                               // 000000005C64: D1FF0027 020655D7
	v_cndmask_b32_e64 v45, v39, v41, s[48:49]                  // 000000005C6C: D100002D 00C25327
	v_perm_b32 v199, v45, v44, s52                             // 000000005C74: D1ED00C7 00D2592D
	ds_write_b64 v3, v[184:185] offset:24832                   // 000000005C7C: D89A6100 0000B803
	ds_write_b64 v3, v[186:187] offset:33536                   // 000000005C84: D89A8300 0000BA03
	ds_write_b64 v3, v[188:189] offset:27008                   // 000000005C8C: D89A6980 0000BC03
	ds_write_b64 v3, v[190:191] offset:35712                   // 000000005C94: D89A8B80 0000BE03
	ds_write_b64 v3, v[192:193] offset:29184                   // 000000005C9C: D89A7200 0000C003
	ds_write_b64 v3, v[194:195] offset:37888                   // 000000005CA4: D89A9400 0000C203
	ds_write_b64 v3, v[196:197] offset:31360                   // 000000005CAC: D89A7A80 0000C403
	ds_write_b64 v3, v[198:199] offset:40064                   // 000000005CB4: D89A9C80 0000C603
	s_waitcnt lgkmcnt(0)                                       // 000000005CBC: BF8CC07F
	s_barrier                                                  // 000000005CC0: BF8A0000
	ds_read_b32 v64, v4 offset:24832                           // 000000005CC4: D86C6100 40000004
	ds_read_b32 v65, v4 offset:29184                           // 000000005CCC: D86C7200 41000004
	ds_read_b32 v66, v4 offset:24864                           // 000000005CD4: D86C6120 42000004
	ds_read_b32 v67, v4 offset:29216                           // 000000005CDC: D86C7220 43000004
	ds_read_b32 v68, v4 offset:24896                           // 000000005CE4: D86C6140 44000004
	ds_read_b32 v69, v4 offset:29248                           // 000000005CEC: D86C7240 45000004
	ds_read_b32 v70, v4 offset:24928                           // 000000005CF4: D86C6160 46000004
	ds_read_b32 v71, v4 offset:29280                           // 000000005CFC: D86C7260 47000004
	ds_read_b32 v72, v4 offset:33536                           // 000000005D04: D86C8300 48000004
	ds_read_b32 v73, v4 offset:37888                           // 000000005D0C: D86C9400 49000004
	ds_read_b32 v74, v4 offset:33568                           // 000000005D14: D86C8320 4A000004
	ds_read_b32 v75, v4 offset:37920                           // 000000005D1C: D86C9420 4B000004
	ds_read_b32 v76, v4 offset:33600                           // 000000005D24: D86C8340 4C000004
	ds_read_b32 v77, v4 offset:37952                           // 000000005D2C: D86C9440 4D000004
	ds_read_b32 v78, v4 offset:33632                           // 000000005D34: D86C8360 4E000004
	ds_read_b32 v79, v4 offset:37984                           // 000000005D3C: D86C9460 4F000004
	s_waitcnt lgkmcnt(0)                                       // 000000005D44: BF8CC07F
	s_mov_b64 exec, s[20:21]                                   // 000000005D48: BEFE0114
	global_atomic_pk_add_bf16 v80, v64, s[8:9]                 // 000000005D4C: DD488000 00084050
	s_mov_b64 exec, s[36:37]                                   // 000000005D54: BEFE0124
	s_mov_b64 exec, s[20:21]                                   // 000000005D58: BEFE0114
	global_atomic_pk_add_bf16 v80, v65, s[8:9] offset:256      // 000000005D5C: DD488100 00084150
	s_mov_b64 exec, s[36:37]                                   // 000000005D64: BEFE0124
	s_mov_b64 exec, s[22:23]                                   // 000000005D68: BEFE0116
	global_atomic_pk_add_bf16 v82, v66, s[8:9]                 // 000000005D6C: DD488000 00084252
	s_mov_b64 exec, s[36:37]                                   // 000000005D74: BEFE0124
	s_mov_b64 exec, s[22:23]                                   // 000000005D78: BEFE0116
	global_atomic_pk_add_bf16 v82, v67, s[8:9] offset:256      // 000000005D7C: DD488100 00084352
	s_mov_b64 exec, s[36:37]                                   // 000000005D84: BEFE0124
	s_mov_b64 exec, s[24:25]                                   // 000000005D88: BEFE0118
	global_atomic_pk_add_bf16 v84, v68, s[8:9]                 // 000000005D8C: DD488000 00084454
	s_mov_b64 exec, s[36:37]                                   // 000000005D94: BEFE0124
	s_mov_b64 exec, s[24:25]                                   // 000000005D98: BEFE0118
	global_atomic_pk_add_bf16 v84, v69, s[8:9] offset:256      // 000000005D9C: DD488100 00084554
	s_mov_b64 exec, s[36:37]                                   // 000000005DA4: BEFE0124
	s_mov_b64 exec, s[26:27]                                   // 000000005DA8: BEFE011A
	global_atomic_pk_add_bf16 v86, v70, s[8:9]                 // 000000005DAC: DD488000 00084656
	s_mov_b64 exec, s[36:37]                                   // 000000005DB4: BEFE0124
	s_mov_b64 exec, s[26:27]                                   // 000000005DB8: BEFE011A
	global_atomic_pk_add_bf16 v86, v71, s[8:9] offset:256      // 000000005DBC: DD488100 00084756
	s_mov_b64 exec, s[36:37]                                   // 000000005DC4: BEFE0124
	s_mov_b64 exec, s[28:29]                                   // 000000005DC8: BEFE011C
	global_atomic_pk_add_bf16 v88, v72, s[8:9]                 // 000000005DCC: DD488000 00084858
	s_mov_b64 exec, s[36:37]                                   // 000000005DD4: BEFE0124
	s_mov_b64 exec, s[28:29]                                   // 000000005DD8: BEFE011C
	global_atomic_pk_add_bf16 v88, v73, s[8:9] offset:256      // 000000005DDC: DD488100 00084958
	s_mov_b64 exec, s[36:37]                                   // 000000005DE4: BEFE0124
	s_mov_b64 exec, s[30:31]                                   // 000000005DE8: BEFE011E
	global_atomic_pk_add_bf16 v90, v74, s[8:9]                 // 000000005DEC: DD488000 00084A5A
	s_mov_b64 exec, s[36:37]                                   // 000000005DF4: BEFE0124
	s_mov_b64 exec, s[30:31]                                   // 000000005DF8: BEFE011E
	global_atomic_pk_add_bf16 v90, v75, s[8:9] offset:256      // 000000005DFC: DD488100 00084B5A
	s_mov_b64 exec, s[36:37]                                   // 000000005E04: BEFE0124
	s_mov_b64 exec, s[32:33]                                   // 000000005E08: BEFE0120
	global_atomic_pk_add_bf16 v92, v76, s[8:9]                 // 000000005E0C: DD488000 00084C5C
	s_mov_b64 exec, s[36:37]                                   // 000000005E14: BEFE0124
	s_mov_b64 exec, s[32:33]                                   // 000000005E18: BEFE0120
	global_atomic_pk_add_bf16 v92, v77, s[8:9] offset:256      // 000000005E1C: DD488100 00084D5C
	s_mov_b64 exec, s[36:37]                                   // 000000005E24: BEFE0124
	s_mov_b64 exec, s[34:35]                                   // 000000005E28: BEFE0122
	global_atomic_pk_add_bf16 v94, v78, s[8:9]                 // 000000005E2C: DD488000 00084E5E
	s_mov_b64 exec, s[36:37]                                   // 000000005E34: BEFE0124
	s_mov_b64 exec, s[34:35]                                   // 000000005E38: BEFE0122
	global_atomic_pk_add_bf16 v94, v79, s[8:9] offset:256      // 000000005E3C: DD488100 00084F5E
	s_mov_b64 exec, s[36:37]                                   // 000000005E44: BEFE0124
	s_add_u32 s8, s59, s8                                      // 000000005E48: 8008083B
	s_addc_u32 s9, 0, s9                                       // 000000005E4C: 82090980
	s_addk_i32 s80, 0x100                                      // 000000005E50: B7500100
	s_cmp_lt_i32 s80, s81                                      // 000000005E54: BF045150
	s_cbranch_scc0 label_0CD8                                  // 000000005E58: BF840001
	s_branch label_07CF                                        // 000000005E5C: BF82FAF7

0000000000005e60 <label_0CD8>:
	s_nop 0                                                    // 000000005E60: BF800000
	s_nop 0                                                    // 000000005E64: BF800000
	s_branch label_1788                                        // 000000005E68: BF820AAD

0000000000005e6c <label_0CDB>:
	s_waitcnt vmcnt(4) lgkmcnt(0)                              // 000000005E6C: BF8C0074
	s_barrier                                                  // 000000005E70: BF8A0000
	v_mfma_i32_16x16x32_i8 v[128:131], a[0:1], v[152:153], v[128:131]// 000000005E74: D3D70080 0E033100
	buffer_load_dwordx4 a[48:51], v32, s[92:95], 0 offen       // 000000005E7C: E05C1000 80973020
	v_mfma_i32_16x16x32_i8 v[128:131], a[2:3], v[154:155], v[128:131]// 000000005E84: D3D70080 0E033502
	v_mfma_i32_16x16x32_i8 v[128:131], a[4:5], v[156:157], v[128:131]// 000000005E8C: D3D70080 0E033904
	buffer_load_dword v24, s[20:23], 0 offen lds               // 000000005E94: E0511000 80050018
	s_add_u32 m0, 0x100, s51                                   // 000000005E9C: 807C33FF 00000100
	v_mfma_i32_16x16x32_i8 v[128:131], a[6:7], v[158:159], v[128:131]// 000000005EA4: D3D70080 0E033D06
	v_mfma_i32_16x16x32_i8 v[128:131], a[8:9], v[160:161], v[128:131]// 000000005EAC: D3D70080 0E034108
	buffer_load_dwordx4 a[52:55], v32, s[92:95], 0 offen offset:1024// 000000005EB4: E05C1400 80973420
	v_mfma_i32_16x16x32_i8 v[128:131], a[10:11], v[162:163], v[128:131]// 000000005EBC: D3D70080 0E03450A
	v_mfma_i32_16x16x32_i8 v[128:131], a[12:13], v[164:165], v[128:131]// 000000005EC4: D3D70080 0E03490C
	buffer_load_dword v25, s[20:23], 0 offen lds               // 000000005ECC: E0511000 80050019
	s_add_u32 m0, 0x200, s51                                   // 000000005ED4: 807C33FF 00000200
	v_mfma_i32_16x16x32_i8 v[128:131], a[14:15], v[166:167], v[128:131]// 000000005EDC: D3D70080 0E034D0E
	v_mfma_i32_16x16x32_i8 v[132:135], a[0:1], v[168:169], v[132:135]// 000000005EE4: D3D70084 0E135100
	buffer_load_dwordx4 a[56:59], v32, s[92:95], 0 offen offset:2048// 000000005EEC: E05C1800 80973820
	v_mfma_i32_16x16x32_i8 v[132:135], a[2:3], v[170:171], v[132:135]// 000000005EF4: D3D70084 0E135502
	v_mfma_i32_16x16x32_i8 v[132:135], a[4:5], v[172:173], v[132:135]// 000000005EFC: D3D70084 0E135904
	buffer_load_dword v26, s[20:23], 0 offen lds               // 000000005F04: E0511000 8005001A
	s_add_u32 m0, 0x300, s51                                   // 000000005F0C: 807C33FF 00000300
	v_mfma_i32_16x16x32_i8 v[132:135], a[6:7], v[174:175], v[132:135]// 000000005F14: D3D70084 0E135D06
	v_mfma_i32_16x16x32_i8 v[132:135], a[8:9], v[176:177], v[132:135]// 000000005F1C: D3D70084 0E136108
	buffer_load_dwordx4 a[60:63], v32, s[92:95], 0 offen offset:3072// 000000005F24: E05C1C00 80973C20
	v_mfma_i32_16x16x32_i8 v[132:135], a[10:11], v[178:179], v[132:135]// 000000005F2C: D3D70084 0E13650A
	v_mfma_i32_16x16x32_i8 v[132:135], a[12:13], v[180:181], v[132:135]// 000000005F34: D3D70084 0E13690C
	buffer_load_dword v27, s[20:23], 0 offen lds               // 000000005F3C: E0511000 8005001B
	s_add_u32 m0, 0x400, s51                                   // 000000005F44: 807C33FF 00000400
	v_mfma_i32_16x16x32_i8 v[132:135], a[14:15], v[182:183], v[132:135]// 000000005F4C: D3D70084 0E136D0E
	v_mfma_i32_16x16x32_i8 v[136:139], a[16:17], v[152:153], v[136:139]// 000000005F54: D3D70088 0E233110
	buffer_load_dwordx4 a[64:67], v33, s[92:95], 0 offen       // 000000005F5C: E05C1000 80974021
	v_mfma_i32_16x16x32_i8 v[136:139], a[18:19], v[154:155], v[136:139]// 000000005F64: D3D70088 0E233512
	v_mfma_i32_16x16x32_i8 v[136:139], a[20:21], v[156:157], v[136:139]// 000000005F6C: D3D70088 0E233914
	buffer_load_dword v28, s[20:23], 0 offen lds               // 000000005F74: E0511000 8005001C
	s_add_u32 m0, 0x500, s51                                   // 000000005F7C: 807C33FF 00000500
	v_mfma_i32_16x16x32_i8 v[136:139], a[22:23], v[158:159], v[136:139]// 000000005F84: D3D70088 0E233D16
	v_mfma_i32_16x16x32_i8 v[136:139], a[24:25], v[160:161], v[136:139]// 000000005F8C: D3D70088 0E234118
	buffer_load_dwordx4 a[68:71], v33, s[92:95], 0 offen offset:1024// 000000005F94: E05C1400 80974421
	v_mfma_i32_16x16x32_i8 v[136:139], a[26:27], v[162:163], v[136:139]// 000000005F9C: D3D70088 0E23451A
	v_mfma_i32_16x16x32_i8 v[136:139], a[28:29], v[164:165], v[136:139]// 000000005FA4: D3D70088 0E23491C
	buffer_load_dword v29, s[20:23], 0 offen lds               // 000000005FAC: E0511000 8005001D
	s_add_u32 m0, 0x600, s51                                   // 000000005FB4: 807C33FF 00000600
	v_mfma_i32_16x16x32_i8 v[136:139], a[30:31], v[166:167], v[136:139]// 000000005FBC: D3D70088 0E234D1E
	v_mfma_i32_16x16x32_i8 v[140:143], a[16:17], v[168:169], v[140:143]// 000000005FC4: D3D7008C 0E335110
	buffer_load_dwordx4 a[72:75], v33, s[92:95], 0 offen offset:2048// 000000005FCC: E05C1800 80974821
	v_mfma_i32_16x16x32_i8 v[140:143], a[18:19], v[170:171], v[140:143]// 000000005FD4: D3D7008C 0E335512
	v_mfma_i32_16x16x32_i8 v[140:143], a[20:21], v[172:173], v[140:143]// 000000005FDC: D3D7008C 0E335914
	buffer_load_dword v30, s[20:23], 0 offen lds               // 000000005FE4: E0511000 8005001E
	s_add_u32 m0, 0x700, s51                                   // 000000005FEC: 807C33FF 00000700
	v_mfma_i32_16x16x32_i8 v[140:143], a[22:23], v[174:175], v[140:143]// 000000005FF4: D3D7008C 0E335D16
	v_mfma_i32_16x16x32_i8 v[140:143], a[24:25], v[176:177], v[140:143]// 000000005FFC: D3D7008C 0E336118
	buffer_load_dwordx4 a[76:79], v33, s[92:95], 0 offen offset:3072// 000000006004: E05C1C00 80974C21
	v_mfma_i32_16x16x32_i8 v[140:143], a[26:27], v[178:179], v[140:143]// 00000000600C: D3D7008C 0E33651A
	v_mfma_i32_16x16x32_i8 v[140:143], a[28:29], v[180:181], v[140:143]// 000000006014: D3D7008C 0E33691C
	buffer_load_dword v31, s[20:23], 0 offen lds               // 00000000601C: E0511000 8005001F
	s_add_u32 m0, 0, s50                                       // 000000006024: 807C3280
	v_mfma_i32_16x16x32_i8 v[140:143], a[30:31], v[182:183], v[140:143]// 000000006028: D3D7008C 0E336D1E
	s_waitcnt vmcnt(16)                                        // 000000006030: BF8C4F70
	v_mfma_i32_16x16x32_i8 v[144:147], a[32:33], v[152:153], v[144:147]// 000000006034: D3D70090 0E433120
	buffer_load_dwordx4 a[80:83], v34, s[92:95], 0 offen       // 00000000603C: E05C1000 80975022
	v_mfma_i32_16x16x32_i8 v[144:147], a[34:35], v[154:155], v[144:147]// 000000006044: D3D70090 0E433522
	v_mfma_i32_16x16x32_i8 v[144:147], a[36:37], v[156:157], v[144:147]// 00000000604C: D3D70090 0E433924
	v_mfma_i32_16x16x32_i8 v[144:147], a[38:39], v[158:159], v[144:147]// 000000006054: D3D70090 0E433D26
	v_mfma_i32_16x16x32_i8 v[144:147], a[40:41], v[160:161], v[144:147]// 00000000605C: D3D70090 0E434128
	buffer_load_dwordx4 a[84:87], v34, s[92:95], 0 offen offset:1024// 000000006064: E05C1400 80975422
	v_mfma_i32_16x16x32_i8 v[144:147], a[42:43], v[162:163], v[144:147]// 00000000606C: D3D70090 0E43452A
	v_mfma_i32_16x16x32_i8 v[144:147], a[44:45], v[164:165], v[144:147]// 000000006074: D3D70090 0E43492C
	v_mfma_i32_16x16x32_i8 v[144:147], a[46:47], v[166:167], v[144:147]// 00000000607C: D3D70090 0E434D2E
	v_mfma_i32_16x16x32_i8 v[148:151], a[32:33], v[168:169], v[148:151]// 000000006084: D3D70094 0E535120
	buffer_load_dwordx4 a[88:91], v34, s[92:95], 0 offen offset:2048// 00000000608C: E05C1800 80975822
	v_mfma_i32_16x16x32_i8 v[148:151], a[34:35], v[170:171], v[148:151]// 000000006094: D3D70094 0E535522
	v_mfma_i32_16x16x32_i8 v[148:151], a[36:37], v[172:173], v[148:151]// 00000000609C: D3D70094 0E535924
	v_mfma_i32_16x16x32_i8 v[148:151], a[38:39], v[174:175], v[148:151]// 0000000060A4: D3D70094 0E535D26
	v_mfma_i32_16x16x32_i8 v[148:151], a[40:41], v[176:177], v[148:151]// 0000000060AC: D3D70094 0E536128
	buffer_load_dwordx4 a[92:95], v34, s[92:95], 0 offen offset:3072// 0000000060B4: E05C1C00 80975C22
	v_mfma_i32_16x16x32_i8 v[148:151], a[42:43], v[178:179], v[148:151]// 0000000060BC: D3D70094 0E53652A
	v_mfma_i32_16x16x32_i8 v[148:151], a[44:45], v[180:181], v[148:151]// 0000000060C4: D3D70094 0E53692C
	v_mfma_i32_16x16x32_i8 v[148:151], a[46:47], v[182:183], v[148:151]// 0000000060CC: D3D70094 0E536D2E
	s_waitcnt vmcnt(4)                                         // 0000000060D4: BF8C0F74
	s_barrier                                                  // 0000000060D8: BF8A0000
	v_mfma_i32_16x16x32_i8 v[64:67], a[48:49], v[152:153], v[64:67]// 0000000060DC: D3D70040 0D033130
	buffer_load_dwordx4 a[0:3], v32, s[24:27], 0 offen         // 0000000060E4: E05C1000 80860020
	v_mfma_i32_16x16x32_i8 v[64:67], a[50:51], v[154:155], v[64:67]// 0000000060EC: D3D70040 0D033532
	v_mfma_i32_16x16x32_i8 v[64:67], a[52:53], v[156:157], v[64:67]// 0000000060F4: D3D70040 0D033934
	v_mfma_i32_16x16x32_i8 v[64:67], a[54:55], v[158:159], v[64:67]// 0000000060FC: D3D70040 0D033D36
	v_mfma_i32_16x16x32_i8 v[64:67], a[56:57], v[160:161], v[64:67]// 000000006104: D3D70040 0D034138
	buffer_load_dwordx4 a[4:7], v32, s[24:27], 0 offen offset:1024// 00000000610C: E05C1400 80860420
	v_mfma_i32_16x16x32_i8 v[64:67], a[58:59], v[162:163], v[64:67]// 000000006114: D3D70040 0D03453A
	v_mfma_i32_16x16x32_i8 v[64:67], a[60:61], v[164:165], v[64:67]// 00000000611C: D3D70040 0D03493C
	v_mfma_i32_16x16x32_i8 v[64:67], a[62:63], v[166:167], v[64:67]// 000000006124: D3D70040 0D034D3E
	v_mfma_i32_16x16x32_i8 v[68:71], a[48:49], v[168:169], v[68:71]// 00000000612C: D3D70044 0D135130
	buffer_load_dwordx4 a[8:11], v32, s[24:27], 0 offen offset:2048// 000000006134: E05C1800 80860820
	v_mfma_i32_16x16x32_i8 v[68:71], a[50:51], v[170:171], v[68:71]// 00000000613C: D3D70044 0D135532
	v_mfma_i32_16x16x32_i8 v[68:71], a[52:53], v[172:173], v[68:71]// 000000006144: D3D70044 0D135934
	v_mfma_i32_16x16x32_i8 v[68:71], a[54:55], v[174:175], v[68:71]// 00000000614C: D3D70044 0D135D36
	v_mfma_i32_16x16x32_i8 v[68:71], a[56:57], v[176:177], v[68:71]// 000000006154: D3D70044 0D136138
	buffer_load_dwordx4 a[12:15], v32, s[24:27], 0 offen offset:3072// 00000000615C: E05C1C00 80860C20
	v_mfma_i32_16x16x32_i8 v[68:71], a[58:59], v[178:179], v[68:71]// 000000006164: D3D70044 0D13653A
	v_mfma_i32_16x16x32_i8 v[68:71], a[60:61], v[180:181], v[68:71]// 00000000616C: D3D70044 0D13693C
	v_mfma_i32_16x16x32_i8 v[68:71], a[62:63], v[182:183], v[68:71]// 000000006174: D3D70044 0D136D3E
	v_mfma_i32_16x16x32_i8 v[72:75], a[64:65], v[152:153], v[72:75]// 00000000617C: D3D70048 0D233140
	buffer_load_dwordx4 a[16:19], v33, s[24:27], 0 offen       // 000000006184: E05C1000 80861021
	v_mfma_i32_16x16x32_i8 v[72:75], a[66:67], v[154:155], v[72:75]// 00000000618C: D3D70048 0D233542
	v_mfma_i32_16x16x32_i8 v[72:75], a[68:69], v[156:157], v[72:75]// 000000006194: D3D70048 0D233944
	ds_read_b128 v[184:187], v2 offset:8320                    // 00000000619C: D9FE2080 B8000002
	v_mfma_i32_16x16x32_i8 v[72:75], a[70:71], v[158:159], v[72:75]// 0000000061A4: D3D70048 0D233D46
	v_mfma_i32_16x16x32_i8 v[72:75], a[72:73], v[160:161], v[72:75]// 0000000061AC: D3D70048 0D234148
	buffer_load_dwordx4 a[20:23], v33, s[24:27], 0 offen offset:1024// 0000000061B4: E05C1400 80861421
	v_mfma_i32_16x16x32_i8 v[72:75], a[74:75], v[162:163], v[72:75]// 0000000061BC: D3D70048 0D23454A
	v_mfma_i32_16x16x32_i8 v[72:75], a[76:77], v[164:165], v[72:75]// 0000000061C4: D3D70048 0D23494C
	ds_read_b128 v[188:191], v2 offset:8384                    // 0000000061CC: D9FE20C0 BC000002
	v_mfma_i32_16x16x32_i8 v[72:75], a[78:79], v[166:167], v[72:75]// 0000000061D4: D3D70048 0D234D4E
	v_mfma_i32_16x16x32_i8 v[76:79], a[64:65], v[168:169], v[76:79]// 0000000061DC: D3D7004C 0D335140
	buffer_load_dwordx4 a[24:27], v33, s[24:27], 0 offen offset:2048// 0000000061E4: E05C1800 80861821
	v_mfma_i32_16x16x32_i8 v[76:79], a[66:67], v[170:171], v[76:79]// 0000000061EC: D3D7004C 0D335542
	v_mfma_i32_16x16x32_i8 v[76:79], a[68:69], v[172:173], v[76:79]// 0000000061F4: D3D7004C 0D335944
	ds_read_b128 v[192:195], v2 offset:8448                    // 0000000061FC: D9FE2100 C0000002
	v_mfma_i32_16x16x32_i8 v[76:79], a[70:71], v[174:175], v[76:79]// 000000006204: D3D7004C 0D335D46
	v_mfma_i32_16x16x32_i8 v[76:79], a[72:73], v[176:177], v[76:79]// 00000000620C: D3D7004C 0D336148
	buffer_load_dwordx4 a[28:31], v33, s[24:27], 0 offen offset:3072// 000000006214: E05C1C00 80861C21
	v_mfma_i32_16x16x32_i8 v[76:79], a[74:75], v[178:179], v[76:79]// 00000000621C: D3D7004C 0D33654A
	v_mfma_i32_16x16x32_i8 v[76:79], a[76:77], v[180:181], v[76:79]// 000000006224: D3D7004C 0D33694C
	ds_read_b128 v[196:199], v2 offset:8512                    // 00000000622C: D9FE2140 C4000002
	v_mfma_i32_16x16x32_i8 v[76:79], a[78:79], v[182:183], v[76:79]// 000000006234: D3D7004C 0D336D4E
	s_waitcnt vmcnt(8)                                         // 00000000623C: BF8C0F78
	v_mfma_i32_16x16x32_i8 v[80:83], a[80:81], v[152:153], v[80:83]// 000000006240: D3D70050 0D433150
	buffer_load_dwordx4 a[32:35], v34, s[24:27], 0 offen       // 000000006248: E05C1000 80862022
	v_mfma_i32_16x16x32_i8 v[80:83], a[82:83], v[154:155], v[80:83]// 000000006250: D3D70050 0D433552
	v_mfma_i32_16x16x32_i8 v[80:83], a[84:85], v[156:157], v[80:83]// 000000006258: D3D70050 0D433954
	ds_read_b128 v[200:203], v2 offset:9344                    // 000000006260: D9FE2480 C8000002
	v_mfma_i32_16x16x32_i8 v[80:83], a[86:87], v[158:159], v[80:83]// 000000006268: D3D70050 0D433D56
	v_mfma_i32_16x16x32_i8 v[80:83], a[88:89], v[160:161], v[80:83]// 000000006270: D3D70050 0D434158
	buffer_load_dwordx4 a[36:39], v34, s[24:27], 0 offen offset:1024// 000000006278: E05C1400 80862422
	v_mfma_i32_16x16x32_i8 v[80:83], a[90:91], v[162:163], v[80:83]// 000000006280: D3D70050 0D43455A
	v_mfma_i32_16x16x32_i8 v[80:83], a[92:93], v[164:165], v[80:83]// 000000006288: D3D70050 0D43495C
	ds_read_b128 v[204:207], v2 offset:9408                    // 000000006290: D9FE24C0 CC000002
	v_mfma_i32_16x16x32_i8 v[80:83], a[94:95], v[166:167], v[80:83]// 000000006298: D3D70050 0D434D5E
	v_mfma_i32_16x16x32_i8 v[84:87], a[80:81], v[168:169], v[84:87]// 0000000062A0: D3D70054 0D535150
	buffer_load_dwordx4 a[40:43], v34, s[24:27], 0 offen offset:2048// 0000000062A8: E05C1800 80862822
	v_mfma_i32_16x16x32_i8 v[84:87], a[82:83], v[170:171], v[84:87]// 0000000062B0: D3D70054 0D535552
	v_mfma_i32_16x16x32_i8 v[84:87], a[84:85], v[172:173], v[84:87]// 0000000062B8: D3D70054 0D535954
	ds_read_b128 v[208:211], v2 offset:9472                    // 0000000062C0: D9FE2500 D0000002
	v_mfma_i32_16x16x32_i8 v[84:87], a[86:87], v[174:175], v[84:87]// 0000000062C8: D3D70054 0D535D56
	v_mfma_i32_16x16x32_i8 v[84:87], a[88:89], v[176:177], v[84:87]// 0000000062D0: D3D70054 0D536158
	buffer_load_dwordx4 a[44:47], v34, s[24:27], 0 offen offset:3072// 0000000062D8: E05C1C00 80862C22
	v_mfma_i32_16x16x32_i8 v[84:87], a[90:91], v[178:179], v[84:87]// 0000000062E0: D3D70054 0D53655A
	v_mfma_i32_16x16x32_i8 v[84:87], a[92:93], v[180:181], v[84:87]// 0000000062E8: D3D70054 0D53695C
	ds_read_b128 v[212:215], v2 offset:9536                    // 0000000062F0: D9FE2540 D4000002
	v_mfma_i32_16x16x32_i8 v[84:87], a[94:95], v[182:183], v[84:87]// 0000000062F8: D3D70054 0D536D5E
	s_add_u32 s60, 0x200, s80                                  // 000000006300: 803C50FF 00000200
	s_cmp_lt_u32 s60, s81                                      // 000000006308: BF0A513C
	s_cselect_b32 s57, s57, 0                                  // 00000000630C: 85398039
	s_add_u32 s60, 0x200, s80                                  // 000000006310: 803C50FF 00000200
	s_cmp_lt_u32 s60, s81                                      // 000000006318: BF0A513C
	s_cselect_b32 s58, s58, 0                                  // 00000000631C: 853A803A
	s_add_u32 s20, s57, s20                                    // 000000006320: 80141439
	s_addc_u32 s21, 0, s21                                     // 000000006324: 82151580
	s_add_u32 s24, s58, s24                                    // 000000006328: 8018183A
	s_addc_u32 s25, 0, s25                                     // 00000000632C: 82191980
	s_add_u32 s92, s90, s92                                    // 000000006330: 805C5C5A
	s_addc_u32 s93, 0, s93                                     // 000000006334: 825D5D80
	s_addk_i32 s80, 0x100                                      // 000000006338: B7500100
	s_cmp_lt_i32 s80, s81                                      // 00000000633C: BF045150
	s_cbranch_scc0 label_0F48                                  // 000000006340: BF840137
	s_waitcnt vmcnt(4) lgkmcnt(0)                              // 000000006344: BF8C0074
	s_barrier                                                  // 000000006348: BF8A0000
	v_mfma_i32_16x16x32_i8 v[128:131], a[0:1], v[184:185], v[128:131]// 00000000634C: D3D70080 0E037100
	buffer_load_dwordx4 a[48:51], v32, s[92:95], 0 offen       // 000000006354: E05C1000 80973020
	v_mfma_i32_16x16x32_i8 v[128:131], a[2:3], v[186:187], v[128:131]// 00000000635C: D3D70080 0E037502
	v_mfma_i32_16x16x32_i8 v[128:131], a[4:5], v[188:189], v[128:131]// 000000006364: D3D70080 0E037904
	buffer_load_dword v24, s[20:23], 0 offen lds               // 00000000636C: E0511000 80050018
	s_add_u32 m0, 0x100, s50                                   // 000000006374: 807C32FF 00000100
	v_mfma_i32_16x16x32_i8 v[128:131], a[6:7], v[190:191], v[128:131]// 00000000637C: D3D70080 0E037D06
	v_mfma_i32_16x16x32_i8 v[128:131], a[8:9], v[192:193], v[128:131]// 000000006384: D3D70080 0E038108
	buffer_load_dwordx4 a[52:55], v32, s[92:95], 0 offen offset:1024// 00000000638C: E05C1400 80973420
	v_mfma_i32_16x16x32_i8 v[128:131], a[10:11], v[194:195], v[128:131]// 000000006394: D3D70080 0E03850A
	v_mfma_i32_16x16x32_i8 v[128:131], a[12:13], v[196:197], v[128:131]// 00000000639C: D3D70080 0E03890C
	buffer_load_dword v25, s[20:23], 0 offen lds               // 0000000063A4: E0511000 80050019
	s_add_u32 m0, 0x200, s50                                   // 0000000063AC: 807C32FF 00000200
	v_mfma_i32_16x16x32_i8 v[128:131], a[14:15], v[198:199], v[128:131]// 0000000063B4: D3D70080 0E038D0E
	v_mfma_i32_16x16x32_i8 v[132:135], a[0:1], v[200:201], v[132:135]// 0000000063BC: D3D70084 0E139100
	buffer_load_dwordx4 a[56:59], v32, s[92:95], 0 offen offset:2048// 0000000063C4: E05C1800 80973820
	v_mfma_i32_16x16x32_i8 v[132:135], a[2:3], v[202:203], v[132:135]// 0000000063CC: D3D70084 0E139502
	v_mfma_i32_16x16x32_i8 v[132:135], a[4:5], v[204:205], v[132:135]// 0000000063D4: D3D70084 0E139904
	buffer_load_dword v26, s[20:23], 0 offen lds               // 0000000063DC: E0511000 8005001A
	s_add_u32 m0, 0x300, s50                                   // 0000000063E4: 807C32FF 00000300
	v_mfma_i32_16x16x32_i8 v[132:135], a[6:7], v[206:207], v[132:135]// 0000000063EC: D3D70084 0E139D06
	v_mfma_i32_16x16x32_i8 v[132:135], a[8:9], v[208:209], v[132:135]// 0000000063F4: D3D70084 0E13A108
	buffer_load_dwordx4 a[60:63], v32, s[92:95], 0 offen offset:3072// 0000000063FC: E05C1C00 80973C20
	v_mfma_i32_16x16x32_i8 v[132:135], a[10:11], v[210:211], v[132:135]// 000000006404: D3D70084 0E13A50A
	v_mfma_i32_16x16x32_i8 v[132:135], a[12:13], v[212:213], v[132:135]// 00000000640C: D3D70084 0E13A90C
	buffer_load_dword v27, s[20:23], 0 offen lds               // 000000006414: E0511000 8005001B
	s_add_u32 m0, 0x400, s50                                   // 00000000641C: 807C32FF 00000400
	v_mfma_i32_16x16x32_i8 v[132:135], a[14:15], v[214:215], v[132:135]// 000000006424: D3D70084 0E13AD0E
	v_mfma_i32_16x16x32_i8 v[136:139], a[16:17], v[184:185], v[136:139]// 00000000642C: D3D70088 0E237110
	buffer_load_dwordx4 a[64:67], v33, s[92:95], 0 offen       // 000000006434: E05C1000 80974021
	v_mfma_i32_16x16x32_i8 v[136:139], a[18:19], v[186:187], v[136:139]// 00000000643C: D3D70088 0E237512
	v_mfma_i32_16x16x32_i8 v[136:139], a[20:21], v[188:189], v[136:139]// 000000006444: D3D70088 0E237914
	buffer_load_dword v28, s[20:23], 0 offen lds               // 00000000644C: E0511000 8005001C
	s_add_u32 m0, 0x500, s50                                   // 000000006454: 807C32FF 00000500
	v_mfma_i32_16x16x32_i8 v[136:139], a[22:23], v[190:191], v[136:139]// 00000000645C: D3D70088 0E237D16
	v_mfma_i32_16x16x32_i8 v[136:139], a[24:25], v[192:193], v[136:139]// 000000006464: D3D70088 0E238118
	buffer_load_dwordx4 a[68:71], v33, s[92:95], 0 offen offset:1024// 00000000646C: E05C1400 80974421
	v_mfma_i32_16x16x32_i8 v[136:139], a[26:27], v[194:195], v[136:139]// 000000006474: D3D70088 0E23851A
	v_mfma_i32_16x16x32_i8 v[136:139], a[28:29], v[196:197], v[136:139]// 00000000647C: D3D70088 0E23891C
	buffer_load_dword v29, s[20:23], 0 offen lds               // 000000006484: E0511000 8005001D
	s_add_u32 m0, 0x600, s50                                   // 00000000648C: 807C32FF 00000600
	v_mfma_i32_16x16x32_i8 v[136:139], a[30:31], v[198:199], v[136:139]// 000000006494: D3D70088 0E238D1E
	v_mfma_i32_16x16x32_i8 v[140:143], a[16:17], v[200:201], v[140:143]// 00000000649C: D3D7008C 0E339110
	buffer_load_dwordx4 a[72:75], v33, s[92:95], 0 offen offset:2048// 0000000064A4: E05C1800 80974821
	v_mfma_i32_16x16x32_i8 v[140:143], a[18:19], v[202:203], v[140:143]// 0000000064AC: D3D7008C 0E339512
	v_mfma_i32_16x16x32_i8 v[140:143], a[20:21], v[204:205], v[140:143]// 0000000064B4: D3D7008C 0E339914
	buffer_load_dword v30, s[20:23], 0 offen lds               // 0000000064BC: E0511000 8005001E
	s_add_u32 m0, 0x700, s50                                   // 0000000064C4: 807C32FF 00000700
	v_mfma_i32_16x16x32_i8 v[140:143], a[22:23], v[206:207], v[140:143]// 0000000064CC: D3D7008C 0E339D16
	v_mfma_i32_16x16x32_i8 v[140:143], a[24:25], v[208:209], v[140:143]// 0000000064D4: D3D7008C 0E33A118
	buffer_load_dwordx4 a[76:79], v33, s[92:95], 0 offen offset:3072// 0000000064DC: E05C1C00 80974C21
	v_mfma_i32_16x16x32_i8 v[140:143], a[26:27], v[210:211], v[140:143]// 0000000064E4: D3D7008C 0E33A51A
	v_mfma_i32_16x16x32_i8 v[140:143], a[28:29], v[212:213], v[140:143]// 0000000064EC: D3D7008C 0E33A91C
	buffer_load_dword v31, s[20:23], 0 offen lds               // 0000000064F4: E0511000 8005001F
	s_add_u32 m0, 0, s51                                       // 0000000064FC: 807C3380
	v_mfma_i32_16x16x32_i8 v[140:143], a[30:31], v[214:215], v[140:143]// 000000006500: D3D7008C 0E33AD1E
	s_waitcnt vmcnt(16)                                        // 000000006508: BF8C4F70
	v_mfma_i32_16x16x32_i8 v[144:147], a[32:33], v[184:185], v[144:147]// 00000000650C: D3D70090 0E437120
	buffer_load_dwordx4 a[80:83], v34, s[92:95], 0 offen       // 000000006514: E05C1000 80975022
	v_mfma_i32_16x16x32_i8 v[144:147], a[34:35], v[186:187], v[144:147]// 00000000651C: D3D70090 0E437522
	v_mfma_i32_16x16x32_i8 v[144:147], a[36:37], v[188:189], v[144:147]// 000000006524: D3D70090 0E437924
	v_mfma_i32_16x16x32_i8 v[144:147], a[38:39], v[190:191], v[144:147]// 00000000652C: D3D70090 0E437D26
	v_mfma_i32_16x16x32_i8 v[144:147], a[40:41], v[192:193], v[144:147]// 000000006534: D3D70090 0E438128
	buffer_load_dwordx4 a[84:87], v34, s[92:95], 0 offen offset:1024// 00000000653C: E05C1400 80975422
	v_mfma_i32_16x16x32_i8 v[144:147], a[42:43], v[194:195], v[144:147]// 000000006544: D3D70090 0E43852A
	v_mfma_i32_16x16x32_i8 v[144:147], a[44:45], v[196:197], v[144:147]// 00000000654C: D3D70090 0E43892C
	v_mfma_i32_16x16x32_i8 v[144:147], a[46:47], v[198:199], v[144:147]// 000000006554: D3D70090 0E438D2E
	v_mfma_i32_16x16x32_i8 v[148:151], a[32:33], v[200:201], v[148:151]// 00000000655C: D3D70094 0E539120
	buffer_load_dwordx4 a[88:91], v34, s[92:95], 0 offen offset:2048// 000000006564: E05C1800 80975822
	v_mfma_i32_16x16x32_i8 v[148:151], a[34:35], v[202:203], v[148:151]// 00000000656C: D3D70094 0E539522
	v_mfma_i32_16x16x32_i8 v[148:151], a[36:37], v[204:205], v[148:151]// 000000006574: D3D70094 0E539924
	v_mfma_i32_16x16x32_i8 v[148:151], a[38:39], v[206:207], v[148:151]// 00000000657C: D3D70094 0E539D26
	v_mfma_i32_16x16x32_i8 v[148:151], a[40:41], v[208:209], v[148:151]// 000000006584: D3D70094 0E53A128
	buffer_load_dwordx4 a[92:95], v34, s[92:95], 0 offen offset:3072// 00000000658C: E05C1C00 80975C22
	v_mfma_i32_16x16x32_i8 v[148:151], a[42:43], v[210:211], v[148:151]// 000000006594: D3D70094 0E53A52A
	v_mfma_i32_16x16x32_i8 v[148:151], a[44:45], v[212:213], v[148:151]// 00000000659C: D3D70094 0E53A92C
	v_mfma_i32_16x16x32_i8 v[148:151], a[46:47], v[214:215], v[148:151]// 0000000065A4: D3D70094 0E53AD2E
	s_waitcnt vmcnt(4)                                         // 0000000065AC: BF8C0F74
	s_barrier                                                  // 0000000065B0: BF8A0000
	v_mfma_i32_16x16x32_i8 v[64:67], a[48:49], v[184:185], v[64:67]// 0000000065B4: D3D70040 0D037130
	buffer_load_dwordx4 a[0:3], v32, s[24:27], 0 offen         // 0000000065BC: E05C1000 80860020
	v_mfma_i32_16x16x32_i8 v[64:67], a[50:51], v[186:187], v[64:67]// 0000000065C4: D3D70040 0D037532
	v_mfma_i32_16x16x32_i8 v[64:67], a[52:53], v[188:189], v[64:67]// 0000000065CC: D3D70040 0D037934
	v_mfma_i32_16x16x32_i8 v[64:67], a[54:55], v[190:191], v[64:67]// 0000000065D4: D3D70040 0D037D36
	v_mfma_i32_16x16x32_i8 v[64:67], a[56:57], v[192:193], v[64:67]// 0000000065DC: D3D70040 0D038138
	buffer_load_dwordx4 a[4:7], v32, s[24:27], 0 offen offset:1024// 0000000065E4: E05C1400 80860420
	v_mfma_i32_16x16x32_i8 v[64:67], a[58:59], v[194:195], v[64:67]// 0000000065EC: D3D70040 0D03853A
	v_mfma_i32_16x16x32_i8 v[64:67], a[60:61], v[196:197], v[64:67]// 0000000065F4: D3D70040 0D03893C
	v_mfma_i32_16x16x32_i8 v[64:67], a[62:63], v[198:199], v[64:67]// 0000000065FC: D3D70040 0D038D3E
	v_mfma_i32_16x16x32_i8 v[68:71], a[48:49], v[200:201], v[68:71]// 000000006604: D3D70044 0D139130
	buffer_load_dwordx4 a[8:11], v32, s[24:27], 0 offen offset:2048// 00000000660C: E05C1800 80860820
	v_mfma_i32_16x16x32_i8 v[68:71], a[50:51], v[202:203], v[68:71]// 000000006614: D3D70044 0D139532
	v_mfma_i32_16x16x32_i8 v[68:71], a[52:53], v[204:205], v[68:71]// 00000000661C: D3D70044 0D139934
	v_mfma_i32_16x16x32_i8 v[68:71], a[54:55], v[206:207], v[68:71]// 000000006624: D3D70044 0D139D36
	v_mfma_i32_16x16x32_i8 v[68:71], a[56:57], v[208:209], v[68:71]// 00000000662C: D3D70044 0D13A138
	buffer_load_dwordx4 a[12:15], v32, s[24:27], 0 offen offset:3072// 000000006634: E05C1C00 80860C20
	v_mfma_i32_16x16x32_i8 v[68:71], a[58:59], v[210:211], v[68:71]// 00000000663C: D3D70044 0D13A53A
	v_mfma_i32_16x16x32_i8 v[68:71], a[60:61], v[212:213], v[68:71]// 000000006644: D3D70044 0D13A93C
	v_mfma_i32_16x16x32_i8 v[68:71], a[62:63], v[214:215], v[68:71]// 00000000664C: D3D70044 0D13AD3E
	v_mfma_i32_16x16x32_i8 v[72:75], a[64:65], v[184:185], v[72:75]// 000000006654: D3D70048 0D237140
	buffer_load_dwordx4 a[16:19], v33, s[24:27], 0 offen       // 00000000665C: E05C1000 80861021
	v_mfma_i32_16x16x32_i8 v[72:75], a[66:67], v[186:187], v[72:75]// 000000006664: D3D70048 0D237542
	v_mfma_i32_16x16x32_i8 v[72:75], a[68:69], v[188:189], v[72:75]// 00000000666C: D3D70048 0D237944
	ds_read_b128 v[152:155], v2                                // 000000006674: D9FE0000 98000002
	v_mfma_i32_16x16x32_i8 v[72:75], a[70:71], v[190:191], v[72:75]// 00000000667C: D3D70048 0D237D46
	v_mfma_i32_16x16x32_i8 v[72:75], a[72:73], v[192:193], v[72:75]// 000000006684: D3D70048 0D238148
	buffer_load_dwordx4 a[20:23], v33, s[24:27], 0 offen offset:1024// 00000000668C: E05C1400 80861421
	v_mfma_i32_16x16x32_i8 v[72:75], a[74:75], v[194:195], v[72:75]// 000000006694: D3D70048 0D23854A
	v_mfma_i32_16x16x32_i8 v[72:75], a[76:77], v[196:197], v[72:75]// 00000000669C: D3D70048 0D23894C
	ds_read_b128 v[156:159], v2 offset:64                      // 0000000066A4: D9FE0040 9C000002
	v_mfma_i32_16x16x32_i8 v[72:75], a[78:79], v[198:199], v[72:75]// 0000000066AC: D3D70048 0D238D4E
	v_mfma_i32_16x16x32_i8 v[76:79], a[64:65], v[200:201], v[76:79]// 0000000066B4: D3D7004C 0D339140
	buffer_load_dwordx4 a[24:27], v33, s[24:27], 0 offen offset:2048// 0000000066BC: E05C1800 80861821
	v_mfma_i32_16x16x32_i8 v[76:79], a[66:67], v[202:203], v[76:79]// 0000000066C4: D3D7004C 0D339542
	v_mfma_i32_16x16x32_i8 v[76:79], a[68:69], v[204:205], v[76:79]// 0000000066CC: D3D7004C 0D339944
	ds_read_b128 v[160:163], v2 offset:128                     // 0000000066D4: D9FE0080 A0000002
	v_mfma_i32_16x16x32_i8 v[76:79], a[70:71], v[206:207], v[76:79]// 0000000066DC: D3D7004C 0D339D46
	v_mfma_i32_16x16x32_i8 v[76:79], a[72:73], v[208:209], v[76:79]// 0000000066E4: D3D7004C 0D33A148
	buffer_load_dwordx4 a[28:31], v33, s[24:27], 0 offen offset:3072// 0000000066EC: E05C1C00 80861C21
	v_mfma_i32_16x16x32_i8 v[76:79], a[74:75], v[210:211], v[76:79]// 0000000066F4: D3D7004C 0D33A54A
	v_mfma_i32_16x16x32_i8 v[76:79], a[76:77], v[212:213], v[76:79]// 0000000066FC: D3D7004C 0D33A94C
	ds_read_b128 v[164:167], v2 offset:192                     // 000000006704: D9FE00C0 A4000002
	v_mfma_i32_16x16x32_i8 v[76:79], a[78:79], v[214:215], v[76:79]// 00000000670C: D3D7004C 0D33AD4E
	s_waitcnt vmcnt(8)                                         // 000000006714: BF8C0F78
	v_mfma_i32_16x16x32_i8 v[80:83], a[80:81], v[184:185], v[80:83]// 000000006718: D3D70050 0D437150
	buffer_load_dwordx4 a[32:35], v34, s[24:27], 0 offen       // 000000006720: E05C1000 80862022
	v_mfma_i32_16x16x32_i8 v[80:83], a[82:83], v[186:187], v[80:83]// 000000006728: D3D70050 0D437552
	v_mfma_i32_16x16x32_i8 v[80:83], a[84:85], v[188:189], v[80:83]// 000000006730: D3D70050 0D437954
	ds_read_b128 v[168:171], v2 offset:1024                    // 000000006738: D9FE0400 A8000002
	v_mfma_i32_16x16x32_i8 v[80:83], a[86:87], v[190:191], v[80:83]// 000000006740: D3D70050 0D437D56
	v_mfma_i32_16x16x32_i8 v[80:83], a[88:89], v[192:193], v[80:83]// 000000006748: D3D70050 0D438158
	buffer_load_dwordx4 a[36:39], v34, s[24:27], 0 offen offset:1024// 000000006750: E05C1400 80862422
	v_mfma_i32_16x16x32_i8 v[80:83], a[90:91], v[194:195], v[80:83]// 000000006758: D3D70050 0D43855A
	v_mfma_i32_16x16x32_i8 v[80:83], a[92:93], v[196:197], v[80:83]// 000000006760: D3D70050 0D43895C
	ds_read_b128 v[172:175], v2 offset:1088                    // 000000006768: D9FE0440 AC000002
	v_mfma_i32_16x16x32_i8 v[80:83], a[94:95], v[198:199], v[80:83]// 000000006770: D3D70050 0D438D5E
	v_mfma_i32_16x16x32_i8 v[84:87], a[80:81], v[200:201], v[84:87]// 000000006778: D3D70054 0D539150
	buffer_load_dwordx4 a[40:43], v34, s[24:27], 0 offen offset:2048// 000000006780: E05C1800 80862822
	v_mfma_i32_16x16x32_i8 v[84:87], a[82:83], v[202:203], v[84:87]// 000000006788: D3D70054 0D539552
	v_mfma_i32_16x16x32_i8 v[84:87], a[84:85], v[204:205], v[84:87]// 000000006790: D3D70054 0D539954
	ds_read_b128 v[176:179], v2 offset:1152                    // 000000006798: D9FE0480 B0000002
	v_mfma_i32_16x16x32_i8 v[84:87], a[86:87], v[206:207], v[84:87]// 0000000067A0: D3D70054 0D539D56
	v_mfma_i32_16x16x32_i8 v[84:87], a[88:89], v[208:209], v[84:87]// 0000000067A8: D3D70054 0D53A158
	buffer_load_dwordx4 a[44:47], v34, s[24:27], 0 offen offset:3072// 0000000067B0: E05C1C00 80862C22
	v_mfma_i32_16x16x32_i8 v[84:87], a[90:91], v[210:211], v[84:87]// 0000000067B8: D3D70054 0D53A55A
	v_mfma_i32_16x16x32_i8 v[84:87], a[92:93], v[212:213], v[84:87]// 0000000067C0: D3D70054 0D53A95C
	ds_read_b128 v[180:183], v2 offset:1216                    // 0000000067C8: D9FE04C0 B4000002
	v_mfma_i32_16x16x32_i8 v[84:87], a[94:95], v[214:215], v[84:87]// 0000000067D0: D3D70054 0D53AD5E
	s_add_u32 s60, 0x200, s80                                  // 0000000067D8: 803C50FF 00000200
	s_cmp_lt_u32 s60, s81                                      // 0000000067E0: BF0A513C
	s_cselect_b32 s57, s57, 0                                  // 0000000067E4: 85398039
	s_add_u32 s60, 0x200, s80                                  // 0000000067E8: 803C50FF 00000200
	s_cmp_lt_u32 s60, s81                                      // 0000000067F0: BF0A513C
	s_cselect_b32 s58, s58, 0                                  // 0000000067F4: 853A803A
	s_add_u32 s20, s57, s20                                    // 0000000067F8: 80141439
	s_addc_u32 s21, 0, s21                                     // 0000000067FC: 82151580
	s_add_u32 s24, s58, s24                                    // 000000006800: 8018183A
	s_addc_u32 s25, 0, s25                                     // 000000006804: 82191980
	s_add_u32 s92, s90, s92                                    // 000000006808: 805C5C5A
	s_addc_u32 s93, 0, s93                                     // 00000000680C: 825D5D80
	s_addk_i32 s80, 0x100                                      // 000000006810: B7500100
	s_cmp_lt_i32 s80, s81                                      // 000000006814: BF045150
	s_cbranch_scc0 label_0F48                                  // 000000006818: BF840001
	s_branch label_0CDB                                        // 00000000681C: BF82FD93

0000000000006820 <label_0F48>:
	s_mov_b32 s36, -1                                          // 000000006820: BEA400C1
	s_mov_b32 s37, -1                                          // 000000006824: BEA500C1
	s_mov_b64 s[60:61], 0                                      // 000000006828: BEBC0180
	s_cmp_lt_u32 s82, s66                                      // 00000000682C: BF0A4252
	s_cselect_b64 s[20:21], s[36:37], s[60:61]                 // 000000006830: 85943C24
	s_cmp_lt_u32 s83, s66                                      // 000000006834: BF0A4253
	s_cselect_b64 s[22:23], s[36:37], s[60:61]                 // 000000006838: 85963C24
	s_cmp_lt_u32 s84, s66                                      // 00000000683C: BF0A4254
	s_cselect_b64 s[24:25], s[36:37], s[60:61]                 // 000000006840: 85983C24
	s_cmp_lt_u32 s85, s66                                      // 000000006844: BF0A4255
	s_cselect_b64 s[26:27], s[36:37], s[60:61]                 // 000000006848: 859A3C24
	s_cmp_lt_u32 s86, s66                                      // 00000000684C: BF0A4256
	s_cselect_b64 s[28:29], s[36:37], s[60:61]                 // 000000006850: 859C3C24
	s_cmp_lt_u32 s87, s66                                      // 000000006854: BF0A4257
	s_cselect_b64 s[30:31], s[36:37], s[60:61]                 // 000000006858: 859E3C24
	s_cmp_lt_u32 s88, s66                                      // 00000000685C: BF0A4258
	s_cselect_b64 s[32:33], s[36:37], s[60:61]                 // 000000006860: 85A03C24
	s_cmp_lt_u32 s89, s66                                      // 000000006864: BF0A4259
	s_cselect_b64 s[34:35], s[36:37], s[60:61]                 // 000000006868: 85A23C24
	v_cvt_f32_i32_e32 v128, v128                               // 00000000686C: 7F000B80
	v_cvt_f32_i32_e32 v129, v129                               // 000000006870: 7F020B81
	v_cvt_f32_i32_e32 v130, v130                               // 000000006874: 7F040B82
	v_cvt_f32_i32_e32 v131, v131                               // 000000006878: 7F060B83
	v_mul_f32_e32 v128, v13, v128                              // 00000000687C: 0B01010D
	v_mul_f32_e32 v129, v13, v129                              // 000000006880: 0B03030D
	v_mul_f32_e32 v130, v13, v130                              // 000000006884: 0B05050D
	v_mul_f32_e32 v131, v13, v131                              // 000000006888: 0B07070D
	v_mul_f32_dpp v128, v15, v128 row_newbcast:0 row_mask:0xf bank_mask:0xf// 00000000688C: 0B0100FA FF01500F
	v_mul_f32_dpp v129, v15, v129 row_newbcast:1 row_mask:0xf bank_mask:0xf// 000000006894: 0B0302FA FF01510F
	v_mul_f32_dpp v130, v15, v130 row_newbcast:2 row_mask:0xf bank_mask:0xf// 00000000689C: 0B0504FA FF01520F
	v_mul_f32_dpp v131, v15, v131 row_newbcast:3 row_mask:0xf bank_mask:0xf// 0000000068A4: 0B0706FA FF01530F
	v_cvt_f32_i32_e32 v132, v132                               // 0000000068AC: 7F080B84
	v_cvt_f32_i32_e32 v133, v133                               // 0000000068B0: 7F0A0B85
	v_cvt_f32_i32_e32 v134, v134                               // 0000000068B4: 7F0C0B86
	v_cvt_f32_i32_e32 v135, v135                               // 0000000068B8: 7F0E0B87
	v_mul_f32_e32 v132, v14, v132                              // 0000000068BC: 0B09090E
	v_mul_f32_e32 v133, v14, v133                              // 0000000068C0: 0B0B0B0E
	v_mul_f32_e32 v134, v14, v134                              // 0000000068C4: 0B0D0D0E
	v_mul_f32_e32 v135, v14, v135                              // 0000000068C8: 0B0F0F0E
	v_mul_f32_dpp v132, v15, v132 row_newbcast:0 row_mask:0xf bank_mask:0xf// 0000000068CC: 0B0908FA FF01500F
	v_mul_f32_dpp v133, v15, v133 row_newbcast:1 row_mask:0xf bank_mask:0xf// 0000000068D4: 0B0B0AFA FF01510F
	v_mul_f32_dpp v134, v15, v134 row_newbcast:2 row_mask:0xf bank_mask:0xf// 0000000068DC: 0B0D0CFA FF01520F
	v_mul_f32_dpp v135, v15, v135 row_newbcast:3 row_mask:0xf bank_mask:0xf// 0000000068E4: 0B0F0EFA FF01530F
	v_cvt_f32_i32_e32 v136, v136                               // 0000000068EC: 7F100B88
	v_cvt_f32_i32_e32 v137, v137                               // 0000000068F0: 7F120B89
	v_cvt_f32_i32_e32 v138, v138                               // 0000000068F4: 7F140B8A
	v_cvt_f32_i32_e32 v139, v139                               // 0000000068F8: 7F160B8B
	v_mul_f32_e32 v136, v13, v136                              // 0000000068FC: 0B11110D
	v_mul_f32_e32 v137, v13, v137                              // 000000006900: 0B13130D
	v_mul_f32_e32 v138, v13, v138                              // 000000006904: 0B15150D
	v_mul_f32_e32 v139, v13, v139                              // 000000006908: 0B17170D
	v_mul_f32_dpp v136, v15, v136 row_newbcast:4 row_mask:0xf bank_mask:0xf// 00000000690C: 0B1110FA FF01540F
	v_mul_f32_dpp v137, v15, v137 row_newbcast:5 row_mask:0xf bank_mask:0xf// 000000006914: 0B1312FA FF01550F
	v_mul_f32_dpp v138, v15, v138 row_newbcast:6 row_mask:0xf bank_mask:0xf// 00000000691C: 0B1514FA FF01560F
	v_mul_f32_dpp v139, v15, v139 row_newbcast:7 row_mask:0xf bank_mask:0xf// 000000006924: 0B1716FA FF01570F
	v_cvt_f32_i32_e32 v140, v140                               // 00000000692C: 7F180B8C
	v_cvt_f32_i32_e32 v141, v141                               // 000000006930: 7F1A0B8D
	v_cvt_f32_i32_e32 v142, v142                               // 000000006934: 7F1C0B8E
	v_cvt_f32_i32_e32 v143, v143                               // 000000006938: 7F1E0B8F
	v_mul_f32_e32 v140, v14, v140                              // 00000000693C: 0B19190E
	v_mul_f32_e32 v141, v14, v141                              // 000000006940: 0B1B1B0E
	v_mul_f32_e32 v142, v14, v142                              // 000000006944: 0B1D1D0E
	v_mul_f32_e32 v143, v14, v143                              // 000000006948: 0B1F1F0E
	v_mul_f32_dpp v140, v15, v140 row_newbcast:4 row_mask:0xf bank_mask:0xf// 00000000694C: 0B1918FA FF01540F
	v_mul_f32_dpp v141, v15, v141 row_newbcast:5 row_mask:0xf bank_mask:0xf// 000000006954: 0B1B1AFA FF01550F
	v_mul_f32_dpp v142, v15, v142 row_newbcast:6 row_mask:0xf bank_mask:0xf// 00000000695C: 0B1D1CFA FF01560F
	v_mul_f32_dpp v143, v15, v143 row_newbcast:7 row_mask:0xf bank_mask:0xf// 000000006964: 0B1F1EFA FF01570F
	v_cvt_f32_i32_e32 v144, v144                               // 00000000696C: 7F200B90
	v_cvt_f32_i32_e32 v145, v145                               // 000000006970: 7F220B91
	v_cvt_f32_i32_e32 v146, v146                               // 000000006974: 7F240B92
	v_cvt_f32_i32_e32 v147, v147                               // 000000006978: 7F260B93
	v_mul_f32_e32 v144, v13, v144                              // 00000000697C: 0B21210D
	v_mul_f32_e32 v145, v13, v145                              // 000000006980: 0B23230D
	v_mul_f32_e32 v146, v13, v146                              // 000000006984: 0B25250D
	v_mul_f32_e32 v147, v13, v147                              // 000000006988: 0B27270D
	v_mul_f32_dpp v144, v15, v144 row_newbcast:8 row_mask:0xf bank_mask:0xf// 00000000698C: 0B2120FA FF01580F
	v_mul_f32_dpp v145, v15, v145 row_newbcast:9 row_mask:0xf bank_mask:0xf// 000000006994: 0B2322FA FF01590F
	v_mul_f32_dpp v146, v15, v146 row_newbcast:10 row_mask:0xf bank_mask:0xf// 00000000699C: 0B2524FA FF015A0F
	v_mul_f32_dpp v147, v15, v147 row_newbcast:11 row_mask:0xf bank_mask:0xf// 0000000069A4: 0B2726FA FF015B0F
	v_cvt_f32_i32_e32 v148, v148                               // 0000000069AC: 7F280B94
	v_cvt_f32_i32_e32 v149, v149                               // 0000000069B0: 7F2A0B95
	v_cvt_f32_i32_e32 v150, v150                               // 0000000069B4: 7F2C0B96
	v_cvt_f32_i32_e32 v151, v151                               // 0000000069B8: 7F2E0B97
	v_mul_f32_e32 v148, v14, v148                              // 0000000069BC: 0B29290E
	v_mul_f32_e32 v149, v14, v149                              // 0000000069C0: 0B2B2B0E
	v_mul_f32_e32 v150, v14, v150                              // 0000000069C4: 0B2D2D0E
	v_mul_f32_e32 v151, v14, v151                              // 0000000069C8: 0B2F2F0E
	v_mul_f32_dpp v148, v15, v148 row_newbcast:8 row_mask:0xf bank_mask:0xf// 0000000069CC: 0B2928FA FF01580F
	v_mul_f32_dpp v149, v15, v149 row_newbcast:9 row_mask:0xf bank_mask:0xf// 0000000069D4: 0B2B2AFA FF01590F
	v_mul_f32_dpp v150, v15, v150 row_newbcast:10 row_mask:0xf bank_mask:0xf// 0000000069DC: 0B2D2CFA FF015A0F
	v_mul_f32_dpp v151, v15, v151 row_newbcast:11 row_mask:0xf bank_mask:0xf// 0000000069E4: 0B2F2EFA FF015B0F
	v_cvt_f32_i32_e32 v64, v64                                 // 0000000069EC: 7E800B40
	v_cvt_f32_i32_e32 v65, v65                                 // 0000000069F0: 7E820B41
	v_cvt_f32_i32_e32 v66, v66                                 // 0000000069F4: 7E840B42
	v_cvt_f32_i32_e32 v67, v67                                 // 0000000069F8: 7E860B43
	v_mul_f32_e32 v64, v13, v64                                // 0000000069FC: 0A80810D
	v_mul_f32_e32 v65, v13, v65                                // 000000006A00: 0A82830D
	v_mul_f32_e32 v66, v13, v66                                // 000000006A04: 0A84850D
	v_mul_f32_e32 v67, v13, v67                                // 000000006A08: 0A86870D
	v_mul_f32_dpp v64, v43, v64 row_newbcast:0 row_mask:0xf bank_mask:0xf// 000000006A0C: 0A8080FA FF01502B
	v_mul_f32_dpp v65, v43, v65 row_newbcast:1 row_mask:0xf bank_mask:0xf// 000000006A14: 0A8282FA FF01512B
	v_mul_f32_dpp v66, v43, v66 row_newbcast:2 row_mask:0xf bank_mask:0xf// 000000006A1C: 0A8484FA FF01522B
	v_mul_f32_dpp v67, v43, v67 row_newbcast:3 row_mask:0xf bank_mask:0xf// 000000006A24: 0A8686FA FF01532B
	v_cvt_f32_i32_e32 v68, v68                                 // 000000006A2C: 7E880B44
	v_cvt_f32_i32_e32 v69, v69                                 // 000000006A30: 7E8A0B45
	v_cvt_f32_i32_e32 v70, v70                                 // 000000006A34: 7E8C0B46
	v_cvt_f32_i32_e32 v71, v71                                 // 000000006A38: 7E8E0B47
	v_mul_f32_e32 v68, v14, v68                                // 000000006A3C: 0A88890E
	v_mul_f32_e32 v69, v14, v69                                // 000000006A40: 0A8A8B0E
	v_mul_f32_e32 v70, v14, v70                                // 000000006A44: 0A8C8D0E
	v_mul_f32_e32 v71, v14, v71                                // 000000006A48: 0A8E8F0E
	v_mul_f32_dpp v68, v43, v68 row_newbcast:0 row_mask:0xf bank_mask:0xf// 000000006A4C: 0A8888FA FF01502B
	v_mul_f32_dpp v69, v43, v69 row_newbcast:1 row_mask:0xf bank_mask:0xf// 000000006A54: 0A8A8AFA FF01512B
	v_mul_f32_dpp v70, v43, v70 row_newbcast:2 row_mask:0xf bank_mask:0xf// 000000006A5C: 0A8C8CFA FF01522B
	v_mul_f32_dpp v71, v43, v71 row_newbcast:3 row_mask:0xf bank_mask:0xf// 000000006A64: 0A8E8EFA FF01532B
	v_cvt_f32_i32_e32 v72, v72                                 // 000000006A6C: 7E900B48
	v_cvt_f32_i32_e32 v73, v73                                 // 000000006A70: 7E920B49
	v_cvt_f32_i32_e32 v74, v74                                 // 000000006A74: 7E940B4A
	v_cvt_f32_i32_e32 v75, v75                                 // 000000006A78: 7E960B4B
	v_mul_f32_e32 v72, v13, v72                                // 000000006A7C: 0A90910D
	v_mul_f32_e32 v73, v13, v73                                // 000000006A80: 0A92930D
	v_mul_f32_e32 v74, v13, v74                                // 000000006A84: 0A94950D
	v_mul_f32_e32 v75, v13, v75                                // 000000006A88: 0A96970D
	v_mul_f32_dpp v72, v43, v72 row_newbcast:4 row_mask:0xf bank_mask:0xf// 000000006A8C: 0A9090FA FF01542B
	v_mul_f32_dpp v73, v43, v73 row_newbcast:5 row_mask:0xf bank_mask:0xf// 000000006A94: 0A9292FA FF01552B
	v_mul_f32_dpp v74, v43, v74 row_newbcast:6 row_mask:0xf bank_mask:0xf// 000000006A9C: 0A9494FA FF01562B
	v_mul_f32_dpp v75, v43, v75 row_newbcast:7 row_mask:0xf bank_mask:0xf// 000000006AA4: 0A9696FA FF01572B
	v_cvt_f32_i32_e32 v76, v76                                 // 000000006AAC: 7E980B4C
	v_cvt_f32_i32_e32 v77, v77                                 // 000000006AB0: 7E9A0B4D
	v_cvt_f32_i32_e32 v78, v78                                 // 000000006AB4: 7E9C0B4E
	v_cvt_f32_i32_e32 v79, v79                                 // 000000006AB8: 7E9E0B4F
	v_mul_f32_e32 v76, v14, v76                                // 000000006ABC: 0A98990E
	v_mul_f32_e32 v77, v14, v77                                // 000000006AC0: 0A9A9B0E
	v_mul_f32_e32 v78, v14, v78                                // 000000006AC4: 0A9C9D0E
	v_mul_f32_e32 v79, v14, v79                                // 000000006AC8: 0A9E9F0E
	v_mul_f32_dpp v76, v43, v76 row_newbcast:4 row_mask:0xf bank_mask:0xf// 000000006ACC: 0A9898FA FF01542B
	v_mul_f32_dpp v77, v43, v77 row_newbcast:5 row_mask:0xf bank_mask:0xf// 000000006AD4: 0A9A9AFA FF01552B
	v_mul_f32_dpp v78, v43, v78 row_newbcast:6 row_mask:0xf bank_mask:0xf// 000000006ADC: 0A9C9CFA FF01562B
	v_mul_f32_dpp v79, v43, v79 row_newbcast:7 row_mask:0xf bank_mask:0xf// 000000006AE4: 0A9E9EFA FF01572B
	v_cvt_f32_i32_e32 v80, v80                                 // 000000006AEC: 7EA00B50
	v_cvt_f32_i32_e32 v81, v81                                 // 000000006AF0: 7EA20B51
	v_cvt_f32_i32_e32 v82, v82                                 // 000000006AF4: 7EA40B52
	v_cvt_f32_i32_e32 v83, v83                                 // 000000006AF8: 7EA60B53
	v_mul_f32_e32 v80, v13, v80                                // 000000006AFC: 0AA0A10D
	v_mul_f32_e32 v81, v13, v81                                // 000000006B00: 0AA2A30D
	v_mul_f32_e32 v82, v13, v82                                // 000000006B04: 0AA4A50D
	v_mul_f32_e32 v83, v13, v83                                // 000000006B08: 0AA6A70D
	v_mul_f32_dpp v80, v43, v80 row_newbcast:8 row_mask:0xf bank_mask:0xf// 000000006B0C: 0AA0A0FA FF01582B
	v_mul_f32_dpp v81, v43, v81 row_newbcast:9 row_mask:0xf bank_mask:0xf// 000000006B14: 0AA2A2FA FF01592B
	v_mul_f32_dpp v82, v43, v82 row_newbcast:10 row_mask:0xf bank_mask:0xf// 000000006B1C: 0AA4A4FA FF015A2B
	v_mul_f32_dpp v83, v43, v83 row_newbcast:11 row_mask:0xf bank_mask:0xf// 000000006B24: 0AA6A6FA FF015B2B
	v_cvt_f32_i32_e32 v84, v84                                 // 000000006B2C: 7EA80B54
	v_cvt_f32_i32_e32 v85, v85                                 // 000000006B30: 7EAA0B55
	v_cvt_f32_i32_e32 v86, v86                                 // 000000006B34: 7EAC0B56
	v_cvt_f32_i32_e32 v87, v87                                 // 000000006B38: 7EAE0B57
	v_mul_f32_e32 v84, v14, v84                                // 000000006B3C: 0AA8A90E
	v_mul_f32_e32 v85, v14, v85                                // 000000006B40: 0AAAAB0E
	v_mul_f32_e32 v86, v14, v86                                // 000000006B44: 0AACAD0E
	v_mul_f32_e32 v87, v14, v87                                // 000000006B48: 0AAEAF0E
	v_mul_f32_dpp v84, v43, v84 row_newbcast:8 row_mask:0xf bank_mask:0xf// 000000006B4C: 0AA8A8FA FF01582B
	v_mul_f32_dpp v85, v43, v85 row_newbcast:9 row_mask:0xf bank_mask:0xf// 000000006B54: 0AAAAAFA FF01592B
	v_mul_f32_dpp v86, v43, v86 row_newbcast:10 row_mask:0xf bank_mask:0xf// 000000006B5C: 0AACACFA FF015A2B
	v_mul_f32_dpp v87, v43, v87 row_newbcast:11 row_mask:0xf bank_mask:0xf// 000000006B64: 0AAEAEFA FF015B2B
	s_waitcnt vmcnt(8)                                         // 000000006B6C: BF8C0F78
	buffer_load_dwordx4 a[0:3], v35, s[12:15], 0 offen         // 000000006B70: E05C1000 80830023
	v_mul_f32_e32 v44, v128, v128                              // 000000006B78: 0A590180
	v_mul_f32_e32 v45, v129, v129                              // 000000006B7C: 0A5B0381
	v_mul_f32_e32 v46, v130, v130                              // 000000006B80: 0A5D0582
	v_mul_f32_e32 v47, v131, v131                              // 000000006B84: 0A5F0783
	v_fma_f32 v44, v44, s77, v1                                // 000000006B88: D1CB002C 04049B2C
	v_fma_f32 v45, v45, s77, v1                                // 000000006B90: D1CB002D 04049B2D
	v_fma_f32 v46, v46, s77, v1                                // 000000006B98: D1CB002E 04049B2E
	v_fma_f32 v47, v47, s77, v1                                // 000000006BA0: D1CB002F 04049B2F
	v_mul_f32_e32 v44, v44, v128                               // 000000006BA8: 0A59012C
	v_mul_f32_e32 v45, v45, v129                               // 000000006BAC: 0A5B032D
	v_mul_f32_e32 v46, v46, v130                               // 000000006BB0: 0A5D052E
	v_mul_f32_e32 v47, v47, v131                               // 000000006BB4: 0A5F072F
	v_mul_f32_e64 v44, v44, s6                                 // 000000006BB8: D105002C 00000D2C
	v_mul_f32_e64 v45, v45, s6                                 // 000000006BC0: D105002D 00000D2D
	v_mul_f32_e64 v46, v46, s6                                 // 000000006BC8: D105002E 00000D2E
	v_mul_f32_e64 v47, v47, s6                                 // 000000006BD0: D105002F 00000D2F
	v_exp_f32_e32 v44, v44                                     // 000000006BD8: 7E58412C
	v_exp_f32_e32 v45, v45                                     // 000000006BDC: 7E5A412D
	v_exp_f32_e32 v46, v46                                     // 000000006BE0: 7E5C412E
	v_exp_f32_e32 v47, v47                                     // 000000006BE4: 7E5E412F
	buffer_load_dwordx4 a[4:7], v36, s[12:15], 0 offen         // 000000006BE8: E05C1000 80830424
	v_add_f32_e64 v44, v44, 1.0                                // 000000006BF0: D101002C 0001E52C
	v_add_f32_e64 v45, v45, 1.0                                // 000000006BF8: D101002D 0001E52D
	v_add_f32_e64 v46, v46, 1.0                                // 000000006C00: D101002E 0001E52E
	v_add_f32_e64 v47, v47, 1.0                                // 000000006C08: D101002F 0001E52F
	v_rcp_f32_e32 v44, v44                                     // 000000006C10: 7E58452C
	v_rcp_f32_e32 v45, v45                                     // 000000006C14: 7E5A452D
	v_rcp_f32_e32 v46, v46                                     // 000000006C18: 7E5C452E
	v_rcp_f32_e32 v47, v47                                     // 000000006C1C: 7E5E452F
	v_mul_f32_e32 v128, v128, v44                              // 000000006C20: 0B005980
	v_mul_f32_e32 v129, v129, v45                              // 000000006C24: 0B025B81
	v_mul_f32_e32 v130, v130, v46                              // 000000006C28: 0B045D82
	v_mul_f32_e32 v131, v131, v47                              // 000000006C2C: 0B065F83
	v_mul_f32_e32 v128, v128, v64                              // 000000006C30: 0B008180
	v_mul_f32_e32 v129, v129, v65                              // 000000006C34: 0B028381
	v_mul_f32_e32 v130, v130, v66                              // 000000006C38: 0B048582
	v_mul_f32_e32 v131, v131, v67                              // 000000006C3C: 0B068783
	buffer_load_dwordx4 a[8:11], v37, s[12:15], 0 offen        // 000000006C40: E05C1000 80830825
	v_mul_f32_e32 v44, v132, v132                              // 000000006C48: 0A590984
	v_mul_f32_e32 v45, v133, v133                              // 000000006C4C: 0A5B0B85
	v_mul_f32_e32 v46, v134, v134                              // 000000006C50: 0A5D0D86
	v_mul_f32_e32 v47, v135, v135                              // 000000006C54: 0A5F0F87
	v_fma_f32 v44, v44, s77, v1                                // 000000006C58: D1CB002C 04049B2C
	v_fma_f32 v45, v45, s77, v1                                // 000000006C60: D1CB002D 04049B2D
	v_fma_f32 v46, v46, s77, v1                                // 000000006C68: D1CB002E 04049B2E
	v_fma_f32 v47, v47, s77, v1                                // 000000006C70: D1CB002F 04049B2F
	v_mul_f32_e32 v44, v44, v132                               // 000000006C78: 0A59092C
	v_mul_f32_e32 v45, v45, v133                               // 000000006C7C: 0A5B0B2D
	v_mul_f32_e32 v46, v46, v134                               // 000000006C80: 0A5D0D2E
	v_mul_f32_e32 v47, v47, v135                               // 000000006C84: 0A5F0F2F
	v_mul_f32_e64 v44, v44, s6                                 // 000000006C88: D105002C 00000D2C
	v_mul_f32_e64 v45, v45, s6                                 // 000000006C90: D105002D 00000D2D
	v_mul_f32_e64 v46, v46, s6                                 // 000000006C98: D105002E 00000D2E
	v_mul_f32_e64 v47, v47, s6                                 // 000000006CA0: D105002F 00000D2F
	v_exp_f32_e32 v44, v44                                     // 000000006CA8: 7E58412C
	v_exp_f32_e32 v45, v45                                     // 000000006CAC: 7E5A412D
	v_exp_f32_e32 v46, v46                                     // 000000006CB0: 7E5C412E
	v_exp_f32_e32 v47, v47                                     // 000000006CB4: 7E5E412F
	buffer_load_dwordx4 a[12:15], v38, s[12:15], 0 offen       // 000000006CB8: E05C1000 80830C26
	s_add_u32 s12, s78, s12                                    // 000000006CC0: 800C0C4E
	s_addc_u32 s13, 0, s13                                     // 000000006CC4: 820D0D80
	v_add_f32_e64 v44, v44, 1.0                                // 000000006CC8: D101002C 0001E52C
	v_add_f32_e64 v45, v45, 1.0                                // 000000006CD0: D101002D 0001E52D
	v_add_f32_e64 v46, v46, 1.0                                // 000000006CD8: D101002E 0001E52E
	v_add_f32_e64 v47, v47, 1.0                                // 000000006CE0: D101002F 0001E52F
	v_rcp_f32_e32 v44, v44                                     // 000000006CE8: 7E58452C
	v_rcp_f32_e32 v45, v45                                     // 000000006CEC: 7E5A452D
	v_rcp_f32_e32 v46, v46                                     // 000000006CF0: 7E5C452E
	v_rcp_f32_e32 v47, v47                                     // 000000006CF4: 7E5E452F
	v_mul_f32_e32 v132, v132, v44                              // 000000006CF8: 0B085984
	v_mul_f32_e32 v133, v133, v45                              // 000000006CFC: 0B0A5B85
	v_mul_f32_e32 v134, v134, v46                              // 000000006D00: 0B0C5D86
	v_mul_f32_e32 v135, v135, v47                              // 000000006D04: 0B0E5F87
	v_mul_f32_e32 v132, v132, v68                              // 000000006D08: 0B088984
	v_mul_f32_e32 v133, v133, v69                              // 000000006D0C: 0B0A8B85
	v_mul_f32_e32 v134, v134, v70                              // 000000006D10: 0B0C8D86
	v_mul_f32_e32 v135, v135, v71                              // 000000006D14: 0B0E8F87
	s_waitcnt vmcnt(8)                                         // 000000006D18: BF8C0F78
	buffer_load_dwordx4 a[16:19], v35, s[12:15], 0 offen       // 000000006D1C: E05C1000 80831023
	v_mul_f32_e32 v44, v136, v136                              // 000000006D24: 0A591188
	v_mul_f32_e32 v45, v137, v137                              // 000000006D28: 0A5B1389
	v_mul_f32_e32 v46, v138, v138                              // 000000006D2C: 0A5D158A
	v_mul_f32_e32 v47, v139, v139                              // 000000006D30: 0A5F178B
	v_fma_f32 v44, v44, s77, v1                                // 000000006D34: D1CB002C 04049B2C
	v_fma_f32 v45, v45, s77, v1                                // 000000006D3C: D1CB002D 04049B2D
	v_fma_f32 v46, v46, s77, v1                                // 000000006D44: D1CB002E 04049B2E
	v_fma_f32 v47, v47, s77, v1                                // 000000006D4C: D1CB002F 04049B2F
	v_mul_f32_e32 v44, v44, v136                               // 000000006D54: 0A59112C
	v_mul_f32_e32 v45, v45, v137                               // 000000006D58: 0A5B132D
	v_mul_f32_e32 v46, v46, v138                               // 000000006D5C: 0A5D152E
	v_mul_f32_e32 v47, v47, v139                               // 000000006D60: 0A5F172F
	v_mul_f32_e64 v44, v44, s6                                 // 000000006D64: D105002C 00000D2C
	v_mul_f32_e64 v45, v45, s6                                 // 000000006D6C: D105002D 00000D2D
	v_mul_f32_e64 v46, v46, s6                                 // 000000006D74: D105002E 00000D2E
	v_mul_f32_e64 v47, v47, s6                                 // 000000006D7C: D105002F 00000D2F
	v_exp_f32_e32 v44, v44                                     // 000000006D84: 7E58412C
	v_exp_f32_e32 v45, v45                                     // 000000006D88: 7E5A412D
	v_exp_f32_e32 v46, v46                                     // 000000006D8C: 7E5C412E
	v_exp_f32_e32 v47, v47                                     // 000000006D90: 7E5E412F
	buffer_load_dwordx4 a[20:23], v36, s[12:15], 0 offen       // 000000006D94: E05C1000 80831424
	v_add_f32_e64 v44, v44, 1.0                                // 000000006D9C: D101002C 0001E52C
	v_add_f32_e64 v45, v45, 1.0                                // 000000006DA4: D101002D 0001E52D
	v_add_f32_e64 v46, v46, 1.0                                // 000000006DAC: D101002E 0001E52E
	v_add_f32_e64 v47, v47, 1.0                                // 000000006DB4: D101002F 0001E52F
	v_rcp_f32_e32 v44, v44                                     // 000000006DBC: 7E58452C
	v_rcp_f32_e32 v45, v45                                     // 000000006DC0: 7E5A452D
	v_rcp_f32_e32 v46, v46                                     // 000000006DC4: 7E5C452E
	v_rcp_f32_e32 v47, v47                                     // 000000006DC8: 7E5E452F
	v_mul_f32_e32 v136, v136, v44                              // 000000006DCC: 0B105988
	v_mul_f32_e32 v137, v137, v45                              // 000000006DD0: 0B125B89
	v_mul_f32_e32 v138, v138, v46                              // 000000006DD4: 0B145D8A
	v_mul_f32_e32 v139, v139, v47                              // 000000006DD8: 0B165F8B
	v_mul_f32_e32 v136, v136, v72                              // 000000006DDC: 0B109188
	v_mul_f32_e32 v137, v137, v73                              // 000000006DE0: 0B129389
	v_mul_f32_e32 v138, v138, v74                              // 000000006DE4: 0B14958A
	v_mul_f32_e32 v139, v139, v75                              // 000000006DE8: 0B16978B
	buffer_load_dwordx4 a[24:27], v37, s[12:15], 0 offen       // 000000006DEC: E05C1000 80831825
	v_mul_f32_e32 v44, v140, v140                              // 000000006DF4: 0A59198C
	v_mul_f32_e32 v45, v141, v141                              // 000000006DF8: 0A5B1B8D
	v_mul_f32_e32 v46, v142, v142                              // 000000006DFC: 0A5D1D8E
	v_mul_f32_e32 v47, v143, v143                              // 000000006E00: 0A5F1F8F
	v_fma_f32 v44, v44, s77, v1                                // 000000006E04: D1CB002C 04049B2C
	v_fma_f32 v45, v45, s77, v1                                // 000000006E0C: D1CB002D 04049B2D
	v_fma_f32 v46, v46, s77, v1                                // 000000006E14: D1CB002E 04049B2E
	v_fma_f32 v47, v47, s77, v1                                // 000000006E1C: D1CB002F 04049B2F
	v_mul_f32_e32 v44, v44, v140                               // 000000006E24: 0A59192C
	v_mul_f32_e32 v45, v45, v141                               // 000000006E28: 0A5B1B2D
	v_mul_f32_e32 v46, v46, v142                               // 000000006E2C: 0A5D1D2E
	v_mul_f32_e32 v47, v47, v143                               // 000000006E30: 0A5F1F2F
	v_mul_f32_e64 v44, v44, s6                                 // 000000006E34: D105002C 00000D2C
	v_mul_f32_e64 v45, v45, s6                                 // 000000006E3C: D105002D 00000D2D
	v_mul_f32_e64 v46, v46, s6                                 // 000000006E44: D105002E 00000D2E
	v_mul_f32_e64 v47, v47, s6                                 // 000000006E4C: D105002F 00000D2F
	v_exp_f32_e32 v44, v44                                     // 000000006E54: 7E58412C
	v_exp_f32_e32 v45, v45                                     // 000000006E58: 7E5A412D
	v_exp_f32_e32 v46, v46                                     // 000000006E5C: 7E5C412E
	v_exp_f32_e32 v47, v47                                     // 000000006E60: 7E5E412F
	buffer_load_dwordx4 a[28:31], v38, s[12:15], 0 offen       // 000000006E64: E05C1000 80831C26
	s_add_u32 s12, s78, s12                                    // 000000006E6C: 800C0C4E
	s_addc_u32 s13, 0, s13                                     // 000000006E70: 820D0D80
	v_add_f32_e64 v44, v44, 1.0                                // 000000006E74: D101002C 0001E52C
	v_add_f32_e64 v45, v45, 1.0                                // 000000006E7C: D101002D 0001E52D
	v_add_f32_e64 v46, v46, 1.0                                // 000000006E84: D101002E 0001E52E
	v_add_f32_e64 v47, v47, 1.0                                // 000000006E8C: D101002F 0001E52F
	v_rcp_f32_e32 v44, v44                                     // 000000006E94: 7E58452C
	v_rcp_f32_e32 v45, v45                                     // 000000006E98: 7E5A452D
	v_rcp_f32_e32 v46, v46                                     // 000000006E9C: 7E5C452E
	v_rcp_f32_e32 v47, v47                                     // 000000006EA0: 7E5E452F
	v_mul_f32_e32 v140, v140, v44                              // 000000006EA4: 0B18598C
	v_mul_f32_e32 v141, v141, v45                              // 000000006EA8: 0B1A5B8D
	v_mul_f32_e32 v142, v142, v46                              // 000000006EAC: 0B1C5D8E
	v_mul_f32_e32 v143, v143, v47                              // 000000006EB0: 0B1E5F8F
	v_mul_f32_e32 v140, v140, v76                              // 000000006EB4: 0B18998C
	v_mul_f32_e32 v141, v141, v77                              // 000000006EB8: 0B1A9B8D
	v_mul_f32_e32 v142, v142, v78                              // 000000006EBC: 0B1C9D8E
	v_mul_f32_e32 v143, v143, v79                              // 000000006EC0: 0B1E9F8F
	s_waitcnt vmcnt(8)                                         // 000000006EC4: BF8C0F78
	buffer_load_dwordx4 a[32:35], v35, s[12:15], 0 offen       // 000000006EC8: E05C1000 80832023
	v_mul_f32_e32 v44, v144, v144                              // 000000006ED0: 0A592190
	v_mul_f32_e32 v45, v145, v145                              // 000000006ED4: 0A5B2391
	v_mul_f32_e32 v46, v146, v146                              // 000000006ED8: 0A5D2592
	v_mul_f32_e32 v47, v147, v147                              // 000000006EDC: 0A5F2793
	v_fma_f32 v44, v44, s77, v1                                // 000000006EE0: D1CB002C 04049B2C
	v_fma_f32 v45, v45, s77, v1                                // 000000006EE8: D1CB002D 04049B2D
	v_fma_f32 v46, v46, s77, v1                                // 000000006EF0: D1CB002E 04049B2E
	v_fma_f32 v47, v47, s77, v1                                // 000000006EF8: D1CB002F 04049B2F
	v_mul_f32_e32 v44, v44, v144                               // 000000006F00: 0A59212C
	v_mul_f32_e32 v45, v45, v145                               // 000000006F04: 0A5B232D
	v_mul_f32_e32 v46, v46, v146                               // 000000006F08: 0A5D252E
	v_mul_f32_e32 v47, v47, v147                               // 000000006F0C: 0A5F272F
	v_mul_f32_e64 v44, v44, s6                                 // 000000006F10: D105002C 00000D2C
	v_mul_f32_e64 v45, v45, s6                                 // 000000006F18: D105002D 00000D2D
	v_mul_f32_e64 v46, v46, s6                                 // 000000006F20: D105002E 00000D2E
	v_mul_f32_e64 v47, v47, s6                                 // 000000006F28: D105002F 00000D2F
	v_exp_f32_e32 v44, v44                                     // 000000006F30: 7E58412C
	v_exp_f32_e32 v45, v45                                     // 000000006F34: 7E5A412D
	v_exp_f32_e32 v46, v46                                     // 000000006F38: 7E5C412E
	v_exp_f32_e32 v47, v47                                     // 000000006F3C: 7E5E412F
	buffer_load_dwordx4 a[36:39], v36, s[12:15], 0 offen       // 000000006F40: E05C1000 80832424
	v_add_f32_e64 v44, v44, 1.0                                // 000000006F48: D101002C 0001E52C
	v_add_f32_e64 v45, v45, 1.0                                // 000000006F50: D101002D 0001E52D
	v_add_f32_e64 v46, v46, 1.0                                // 000000006F58: D101002E 0001E52E
	v_add_f32_e64 v47, v47, 1.0                                // 000000006F60: D101002F 0001E52F
	v_rcp_f32_e32 v44, v44                                     // 000000006F68: 7E58452C
	v_rcp_f32_e32 v45, v45                                     // 000000006F6C: 7E5A452D
	v_rcp_f32_e32 v46, v46                                     // 000000006F70: 7E5C452E
	v_rcp_f32_e32 v47, v47                                     // 000000006F74: 7E5E452F
	v_mul_f32_e32 v144, v144, v44                              // 000000006F78: 0B205990
	v_mul_f32_e32 v145, v145, v45                              // 000000006F7C: 0B225B91
	v_mul_f32_e32 v146, v146, v46                              // 000000006F80: 0B245D92
	v_mul_f32_e32 v147, v147, v47                              // 000000006F84: 0B265F93
	v_mul_f32_e32 v144, v144, v80                              // 000000006F88: 0B20A190
	v_mul_f32_e32 v145, v145, v81                              // 000000006F8C: 0B22A391
	v_mul_f32_e32 v146, v146, v82                              // 000000006F90: 0B24A592
	v_mul_f32_e32 v147, v147, v83                              // 000000006F94: 0B26A793
	buffer_load_dwordx4 a[40:43], v37, s[12:15], 0 offen       // 000000006F98: E05C1000 80832825
	v_mul_f32_e32 v44, v148, v148                              // 000000006FA0: 0A592994
	v_mul_f32_e32 v45, v149, v149                              // 000000006FA4: 0A5B2B95
	v_mul_f32_e32 v46, v150, v150                              // 000000006FA8: 0A5D2D96
	v_mul_f32_e32 v47, v151, v151                              // 000000006FAC: 0A5F2F97
	v_fma_f32 v44, v44, s77, v1                                // 000000006FB0: D1CB002C 04049B2C
	v_fma_f32 v45, v45, s77, v1                                // 000000006FB8: D1CB002D 04049B2D
	v_fma_f32 v46, v46, s77, v1                                // 000000006FC0: D1CB002E 04049B2E
	v_fma_f32 v47, v47, s77, v1                                // 000000006FC8: D1CB002F 04049B2F
	v_mul_f32_e32 v44, v44, v148                               // 000000006FD0: 0A59292C
	v_mul_f32_e32 v45, v45, v149                               // 000000006FD4: 0A5B2B2D
	v_mul_f32_e32 v46, v46, v150                               // 000000006FD8: 0A5D2D2E
	v_mul_f32_e32 v47, v47, v151                               // 000000006FDC: 0A5F2F2F
	v_mul_f32_e64 v44, v44, s6                                 // 000000006FE0: D105002C 00000D2C
	v_mul_f32_e64 v45, v45, s6                                 // 000000006FE8: D105002D 00000D2D
	v_mul_f32_e64 v46, v46, s6                                 // 000000006FF0: D105002E 00000D2E
	v_mul_f32_e64 v47, v47, s6                                 // 000000006FF8: D105002F 00000D2F
	v_exp_f32_e32 v44, v44                                     // 000000007000: 7E58412C
	v_exp_f32_e32 v45, v45                                     // 000000007004: 7E5A412D
	v_exp_f32_e32 v46, v46                                     // 000000007008: 7E5C412E
	v_exp_f32_e32 v47, v47                                     // 00000000700C: 7E5E412F
	buffer_load_dwordx4 a[44:47], v38, s[12:15], 0 offen       // 000000007010: E05C1000 80832C26
	v_add_f32_e64 v44, v44, 1.0                                // 000000007018: D101002C 0001E52C
	v_add_f32_e64 v45, v45, 1.0                                // 000000007020: D101002D 0001E52D
	v_add_f32_e64 v46, v46, 1.0                                // 000000007028: D101002E 0001E52E
	v_add_f32_e64 v47, v47, 1.0                                // 000000007030: D101002F 0001E52F
	v_rcp_f32_e32 v44, v44                                     // 000000007038: 7E58452C
	v_rcp_f32_e32 v45, v45                                     // 00000000703C: 7E5A452D
	v_rcp_f32_e32 v46, v46                                     // 000000007040: 7E5C452E
	v_rcp_f32_e32 v47, v47                                     // 000000007044: 7E5E452F
	v_mul_f32_e32 v148, v148, v44                              // 000000007048: 0B285994
	v_mul_f32_e32 v149, v149, v45                              // 00000000704C: 0B2A5B95
	v_mul_f32_e32 v150, v150, v46                              // 000000007050: 0B2C5D96
	v_mul_f32_e32 v151, v151, v47                              // 000000007054: 0B2E5F97
	v_mul_f32_e32 v148, v148, v84                              // 000000007058: 0B28A994
	v_mul_f32_e32 v149, v149, v85                              // 00000000705C: 0B2AAB95
	v_mul_f32_e32 v150, v150, v86                              // 000000007060: 0B2CAD96
	v_mul_f32_e32 v151, v151, v87                              // 000000007064: 0B2EAF97
	v_lshlrev_b32_e32 v44, 2, v0                               // 000000007068: 24580082
	s_mul_i32 s60, s82, s71                                    // 00000000706C: 923C4752
	v_add_u32_e64 v80, v44, s60                                // 000000007070: D1340050 0000792C
	v_mov_b32_e32 v81, 0                                       // 000000007078: 7EA20280
	s_mul_i32 s60, s83, s71                                    // 00000000707C: 923C4753
	v_add_u32_e64 v82, v44, s60                                // 000000007080: D1340052 0000792C
	v_mov_b32_e32 v83, 0                                       // 000000007088: 7EA60280
	s_mul_i32 s60, s84, s71                                    // 00000000708C: 923C4754
	v_add_u32_e64 v84, v44, s60                                // 000000007090: D1340054 0000792C
	v_mov_b32_e32 v85, 0                                       // 000000007098: 7EAA0280
	s_mul_i32 s60, s85, s71                                    // 00000000709C: 923C4755
	v_add_u32_e64 v86, v44, s60                                // 0000000070A0: D1340056 0000792C
	v_mov_b32_e32 v87, 0                                       // 0000000070A8: 7EAE0280
	s_mul_i32 s60, s86, s71                                    // 0000000070AC: 923C4756
	v_add_u32_e64 v88, v44, s60                                // 0000000070B0: D1340058 0000792C
	v_mov_b32_e32 v89, 0                                       // 0000000070B8: 7EB20280
	s_mul_i32 s60, s87, s71                                    // 0000000070BC: 923C4757
	v_add_u32_e64 v90, v44, s60                                // 0000000070C0: D134005A 0000792C
	v_mov_b32_e32 v91, 0                                       // 0000000070C8: 7EB60280
	s_mul_i32 s60, s88, s71                                    // 0000000070CC: 923C4758
	v_add_u32_e64 v92, v44, s60                                // 0000000070D0: D134005C 0000792C
	v_mov_b32_e32 v93, 0                                       // 0000000070D8: 7EBA0280
	s_mul_i32 s60, s89, s71                                    // 0000000070DC: 923C4759
	v_add_u32_e64 v94, v44, s60                                // 0000000070E0: D134005E 0000792C
	v_mov_b32_e32 v95, 0                                       // 0000000070E8: 7EBE0280
	buffer_load_dword v11, v5, s[16:19], 0 offen               // 0000000070EC: E0501000 80040B05
	v_mov_b32_e32 v20, 0x358637bd                              // 0000000070F4: 7E2802FF 358637BD
	v_mov_b32_e32 v21, 0x358637bd                              // 0000000070FC: 7E2A02FF 358637BD
	v_max3_f32 v20, |v128|, |v129|, v20                        // 000000007104: D1D30314 04530380
	v_max3_f32 v20, |v130|, |v131|, v20                        // 00000000710C: D1D30314 04530782
	v_max3_f32 v21, |v132|, |v133|, v21                        // 000000007114: D1D30315 04570B84
	v_max3_f32 v21, |v134|, |v135|, v21                        // 00000000711C: D1D30315 04570F86
	v_max3_f32 v20, |v136|, |v137|, v20                        // 000000007124: D1D30314 04531388
	v_max3_f32 v20, |v138|, |v139|, v20                        // 00000000712C: D1D30314 0453178A
	v_max3_f32 v21, |v140|, |v141|, v21                        // 000000007134: D1D30315 04571B8C
	v_max3_f32 v21, |v142|, |v143|, v21                        // 00000000713C: D1D30315 04571F8E
	v_max3_f32 v20, |v144|, |v145|, v20                        // 000000007144: D1D30314 04532390
	v_max3_f32 v20, |v146|, |v147|, v20                        // 00000000714C: D1D30314 04532792
	v_max3_f32 v21, |v148|, |v149|, v21                        // 000000007154: D1D30315 04572B94
	v_max3_f32 v21, |v150|, |v151|, v21                        // 00000000715C: D1D30315 04572F96
	v_lshlrev_b32_e32 v44, 3, v0                               // 000000007164: 24580083
	s_mul_i32 s60, 0x200, s7                                   // 000000007168: 923C07FF 00000200
	v_add_u32_e32 v44, s60, v44                                // 000000007170: 6858583C
	ds_write_b64 v44, v[20:21] offset:16640                    // 000000007174: D89A4100 0000142C
	s_waitcnt lgkmcnt(0)                                       // 00000000717C: BF8CC07F
	s_barrier                                                  // 000000007180: BF8A0000
	v_and_b32_e32 v44, 15, v0                                  // 000000007184: 2658008F
	v_lshlrev_b32_e32 v44, 3, v44                              // 000000007188: 24585883
	ds_read_b64 v[96:97], v44 offset:16640                     // 00000000718C: D8EC4100 6000002C
	ds_read_b64 v[98:99], v44 offset:16768                     // 000000007194: D8EC4180 6200002C
	ds_read_b64 v[100:101], v44 offset:16896                   // 00000000719C: D8EC4200 6400002C
	ds_read_b64 v[102:103], v44 offset:17024                   // 0000000071A4: D8EC4280 6600002C
	ds_read_b64 v[104:105], v44 offset:17152                   // 0000000071AC: D8EC4300 6800002C
	ds_read_b64 v[106:107], v44 offset:17280                   // 0000000071B4: D8EC4380 6A00002C
	ds_read_b64 v[108:109], v44 offset:17408                   // 0000000071BC: D8EC4400 6C00002C
	ds_read_b64 v[110:111], v44 offset:17536                   // 0000000071C4: D8EC4480 6E00002C
	ds_read_b64 v[112:113], v44 offset:17664                   // 0000000071CC: D8EC4500 7000002C
	ds_read_b64 v[114:115], v44 offset:17792                   // 0000000071D4: D8EC4580 7200002C
	ds_read_b64 v[116:117], v44 offset:17920                   // 0000000071DC: D8EC4600 7400002C
	ds_read_b64 v[118:119], v44 offset:18048                   // 0000000071E4: D8EC4680 7600002C
	ds_read_b64 v[120:121], v44 offset:18176                   // 0000000071EC: D8EC4700 7800002C
	ds_read_b64 v[122:123], v44 offset:18304                   // 0000000071F4: D8EC4780 7A00002C
	ds_read_b64 v[124:125], v44 offset:18432                   // 0000000071FC: D8EC4800 7C00002C
	ds_read_b64 v[126:127], v44 offset:18560                   // 000000007204: D8EC4880 7E00002C
	s_waitcnt lgkmcnt(0)                                       // 00000000720C: BF8CC07F
	v_max3_f32 v20, |v96|, |v98|, v20                          // 000000007210: D1D30314 0452C560
	v_max3_f32 v21, |v97|, |v99|, v21                          // 000000007218: D1D30315 0456C761
	v_max3_f32 v20, |v100|, |v102|, v20                        // 000000007220: D1D30314 0452CD64
	v_max3_f32 v21, |v101|, |v103|, v21                        // 000000007228: D1D30315 0456CF65
	v_max3_f32 v20, |v104|, |v106|, v20                        // 000000007230: D1D30314 0452D568
	v_max3_f32 v21, |v105|, |v107|, v21                        // 000000007238: D1D30315 0456D769
	v_max3_f32 v20, |v108|, |v110|, v20                        // 000000007240: D1D30314 0452DD6C
	v_max3_f32 v21, |v109|, |v111|, v21                        // 000000007248: D1D30315 0456DF6D
	v_max3_f32 v20, |v112|, |v114|, v20                        // 000000007250: D1D30314 0452E570
	v_max3_f32 v21, |v113|, |v115|, v21                        // 000000007258: D1D30315 0456E771
	v_max3_f32 v20, |v116|, |v118|, v20                        // 000000007260: D1D30314 0452ED74
	v_max3_f32 v21, |v117|, |v119|, v21                        // 000000007268: D1D30315 0456EF75
	v_max3_f32 v20, |v120|, |v122|, v20                        // 000000007270: D1D30314 0452F578
	v_max3_f32 v21, |v121|, |v123|, v21                        // 000000007278: D1D30315 0456F779
	v_max3_f32 v20, |v124|, |v126|, v20                        // 000000007280: D1D30314 0452FD7C
	v_max3_f32 v21, |v125|, |v127|, v21                        // 000000007288: D1D30315 0456FF7D
	v_rcp_f32_e32 v20, v20                                     // 000000007290: 7E284514
	v_rcp_f32_e32 v21, v21                                     // 000000007294: 7E2A4515
	v_mul_f32_e32 v20, 0x42fe0000, v20                         // 000000007298: 0A2828FF 42FE0000
	v_mul_f32_e32 v21, 0x42fe0000, v21                         // 0000000072A0: 0A2A2AFF 42FE0000
	v_mul_f32_e32 v128, v20, v128                              // 0000000072A8: 0B010114
	v_mul_f32_e32 v129, v20, v129                              // 0000000072AC: 0B030314
	v_mul_f32_e32 v130, v20, v130                              // 0000000072B0: 0B050514
	v_mul_f32_e32 v131, v20, v131                              // 0000000072B4: 0B070714
	v_cvt_i32_f32_e32 v128, v128                               // 0000000072B8: 7F001180
	v_cvt_i32_f32_e32 v129, v129                               // 0000000072BC: 7F021181
	v_cvt_i32_f32_e32 v130, v130                               // 0000000072C0: 7F041182
	v_cvt_i32_f32_e32 v131, v131                               // 0000000072C4: 7F061183
	v_perm_b32 v128, v129, v128, s53                           // 0000000072C8: D1ED0080 00D70181
	v_perm_b32 v128, v130, v128, s54                           // 0000000072D0: D1ED0080 00DB0182
	v_perm_b32 v128, v131, v128, s55                           // 0000000072D8: D1ED0080 00DF0183
	v_mul_f32_e32 v132, v21, v132                              // 0000000072E0: 0B090915
	v_mul_f32_e32 v133, v21, v133                              // 0000000072E4: 0B0B0B15
	v_mul_f32_e32 v134, v21, v134                              // 0000000072E8: 0B0D0D15
	v_mul_f32_e32 v135, v21, v135                              // 0000000072EC: 0B0F0F15
	v_cvt_i32_f32_e32 v132, v132                               // 0000000072F0: 7F081184
	v_cvt_i32_f32_e32 v133, v133                               // 0000000072F4: 7F0A1185
	v_cvt_i32_f32_e32 v134, v134                               // 0000000072F8: 7F0C1186
	v_cvt_i32_f32_e32 v135, v135                               // 0000000072FC: 7F0E1187
	v_perm_b32 v129, v133, v132, s53                           // 000000007300: D1ED0081 00D70985
	v_perm_b32 v129, v134, v129, s54                           // 000000007308: D1ED0081 00DB0386
	v_perm_b32 v129, v135, v129, s55                           // 000000007310: D1ED0081 00DF0387
	v_mul_f32_e32 v136, v20, v136                              // 000000007318: 0B111114
	v_mul_f32_e32 v137, v20, v137                              // 00000000731C: 0B131314
	v_mul_f32_e32 v138, v20, v138                              // 000000007320: 0B151514
	v_mul_f32_e32 v139, v20, v139                              // 000000007324: 0B171714
	v_cvt_i32_f32_e32 v136, v136                               // 000000007328: 7F101188
	v_cvt_i32_f32_e32 v137, v137                               // 00000000732C: 7F121189
	v_cvt_i32_f32_e32 v138, v138                               // 000000007330: 7F14118A
	v_cvt_i32_f32_e32 v139, v139                               // 000000007334: 7F16118B
	v_perm_b32 v130, v137, v136, s53                           // 000000007338: D1ED0082 00D71189
	v_perm_b32 v130, v138, v130, s54                           // 000000007340: D1ED0082 00DB058A
	v_perm_b32 v130, v139, v130, s55                           // 000000007348: D1ED0082 00DF058B
	v_mul_f32_e32 v140, v21, v140                              // 000000007350: 0B191915
	v_mul_f32_e32 v141, v21, v141                              // 000000007354: 0B1B1B15
	v_mul_f32_e32 v142, v21, v142                              // 000000007358: 0B1D1D15
	v_mul_f32_e32 v143, v21, v143                              // 00000000735C: 0B1F1F15
	v_cvt_i32_f32_e32 v140, v140                               // 000000007360: 7F18118C
	v_cvt_i32_f32_e32 v141, v141                               // 000000007364: 7F1A118D
	v_cvt_i32_f32_e32 v142, v142                               // 000000007368: 7F1C118E
	v_cvt_i32_f32_e32 v143, v143                               // 00000000736C: 7F1E118F
	v_perm_b32 v131, v141, v140, s53                           // 000000007370: D1ED0083 00D7198D
	v_perm_b32 v131, v142, v131, s54                           // 000000007378: D1ED0083 00DB078E
	v_perm_b32 v131, v143, v131, s55                           // 000000007380: D1ED0083 00DF078F
	v_mul_f32_e32 v144, v20, v144                              // 000000007388: 0B212114
	v_mul_f32_e32 v145, v20, v145                              // 00000000738C: 0B232314
	v_mul_f32_e32 v146, v20, v146                              // 000000007390: 0B252514
	v_mul_f32_e32 v147, v20, v147                              // 000000007394: 0B272714
	v_cvt_i32_f32_e32 v144, v144                               // 000000007398: 7F201190
	v_cvt_i32_f32_e32 v145, v145                               // 00000000739C: 7F221191
	v_cvt_i32_f32_e32 v146, v146                               // 0000000073A0: 7F241192
	v_cvt_i32_f32_e32 v147, v147                               // 0000000073A4: 7F261193
	v_perm_b32 v132, v145, v144, s53                           // 0000000073A8: D1ED0084 00D72191
	v_perm_b32 v132, v146, v132, s54                           // 0000000073B0: D1ED0084 00DB0992
	v_perm_b32 v132, v147, v132, s55                           // 0000000073B8: D1ED0084 00DF0993
	v_mul_f32_e32 v148, v21, v148                              // 0000000073C0: 0B292915
	v_mul_f32_e32 v149, v21, v149                              // 0000000073C4: 0B2B2B15
	v_mul_f32_e32 v150, v21, v150                              // 0000000073C8: 0B2D2D15
	v_mul_f32_e32 v151, v21, v151                              // 0000000073CC: 0B2F2F15
	v_cvt_i32_f32_e32 v148, v148                               // 0000000073D0: 7F281194
	v_cvt_i32_f32_e32 v149, v149                               // 0000000073D4: 7F2A1195
	v_cvt_i32_f32_e32 v150, v150                               // 0000000073D8: 7F2C1196
	v_cvt_i32_f32_e32 v151, v151                               // 0000000073DC: 7F2E1197
	v_perm_b32 v133, v149, v148, s53                           // 0000000073E0: D1ED0085 00D72995
	v_perm_b32 v133, v150, v133, s54                           // 0000000073E8: D1ED0085 00DB0B96
	v_perm_b32 v133, v151, v133, s55                           // 0000000073F0: D1ED0085 00DF0B97
	v_rcp_f32_e32 v22, v20                                     // 0000000073F8: 7E2C4514
	v_rcp_f32_e32 v23, v21                                     // 0000000073FC: 7E2E4515
	v_lshrrev_b32_e32 v44, 5, v0                               // 000000007400: 20580085
	v_lshlrev_b32_e32 v45, 5, v44                              // 000000007404: 245A5885
	v_and_b32_e32 v44, 31, v0                                  // 000000007408: 2658009F
	v_lshrrev_b32_e32 v46, 4, v44                              // 00000000740C: 205C5884
	v_add_u32_e32 v45, v46, v45                                // 000000007410: 685A5B2E
	v_and_b32_e32 v44, 15, v0                                  // 000000007414: 2658008F
	v_lshlrev_b32_e32 v44, 1, v44                              // 000000007418: 24585881
	v_add_u32_e32 v45, v44, v45                                // 00000000741C: 685A5B2C
	v_lshlrev_b32_e32 v44, 2, v45                              // 000000007420: 24585A82
	s_mul_i32 s60, 0x100, s7                                   // 000000007424: 923C07FF 00000100
	v_add_u32_e64 v44, v44, s60                                // 00000000742C: D134002C 0000792C
	ds_write_b32 v44, v128 offset:18688                        // 000000007434: D81A4900 0000802C
	ds_write_b32 v44, v129 offset:21760                        // 00000000743C: D81A5500 0000812C
	ds_write_b32 v44, v130 offset:19712                        // 000000007444: D81A4D00 0000822C
	ds_write_b32 v44, v131 offset:22784                        // 00000000744C: D81A5900 0000832C
	ds_write_b32 v44, v132 offset:20736                        // 000000007454: D81A5100 0000842C
	ds_write_b32 v44, v133 offset:23808                        // 00000000745C: D81A5D00 0000852C
	s_waitcnt lgkmcnt(0)                                       // 000000007464: BF8CC07F
	s_barrier                                                  // 000000007468: BF8A0000
	v_lshrrev_b32_e32 v44, 4, v0                               // 00000000746C: 20580084
	v_lshlrev_b32_e32 v45, 6, v44                              // 000000007470: 245A5886
	v_and_b32_e32 v44, 15, v0                                  // 000000007474: 2658008F
	v_lshlrev_b32_e32 v44, 1, v44                              // 000000007478: 24585881
	v_add_u32_e32 v45, v44, v45                                // 00000000747C: 685A5B2C
	v_lshlrev_b32_e32 v44, 2, v45                              // 000000007480: 24585A82
	ds_read_b64 v[128:129], v44 offset:18688                   // 000000007484: D8EC4900 8000002C
	ds_read_b64 v[130:131], v44 offset:18816                   // 00000000748C: D8EC4980 8200002C
	ds_read_b64 v[132:133], v44 offset:19712                   // 000000007494: D8EC4D00 8400002C
	ds_read_b64 v[134:135], v44 offset:19840                   // 00000000749C: D8EC4D80 8600002C
	ds_read_b64 v[136:137], v44 offset:20736                   // 0000000074A4: D8EC5100 8800002C
	ds_read_b64 v[138:139], v44 offset:20864                   // 0000000074AC: D8EC5180 8A00002C
	ds_read_b64 v[140:141], v44 offset:21760                   // 0000000074B4: D8EC5500 8C00002C
	ds_read_b64 v[142:143], v44 offset:21888                   // 0000000074BC: D8EC5580 8E00002C
	ds_read_b64 v[144:145], v44 offset:22784                   // 0000000074C4: D8EC5900 9000002C
	ds_read_b64 v[146:147], v44 offset:22912                   // 0000000074CC: D8EC5980 9200002C
	ds_read_b64 v[148:149], v44 offset:23808                   // 0000000074D4: D8EC5D00 9400002C
	ds_read_b64 v[150:151], v44 offset:23936                   // 0000000074DC: D8EC5D80 9600002C
	s_add_u32 s12, s56, s12                                    // 0000000074E4: 800C0C38
	s_addc_u32 s13, 0, s13                                     // 0000000074E8: 820D0D80
	s_add_u32 s16, s79, s16                                    // 0000000074EC: 8010104F
	s_addc_u32 s17, 0, s17                                     // 0000000074F0: 82111180
	s_mov_b32 s80, 0                                           // 0000000074F4: BED00080
	s_waitcnt vmcnt(0) expcnt(0) lgkmcnt(0)                    // 0000000074F8: BF8C0000

00000000000074fc <label_127F>:
	s_waitcnt vmcnt(25)                                        // 0000000074FC: BF8C4F79
	s_barrier                                                  // 000000007500: BF8A0000
	v_mfma_i32_16x16x32_i8 v[152:155], a[0:1], v[128:129], 0   // 000000007504: D3D70098 0A030100
	buffer_load_dwordx4 a[48:51], v35, s[12:15], 0 offen       // 00000000750C: E05C1000 80833023
	v_mfma_i32_16x16x32_i8 v[152:155], a[2:3], v[130:131], v[152:155]// 000000007514: D3D70098 0E630502
	v_mfma_i32_16x16x32_i8 v[156:159], a[0:1], v[140:141], 0   // 00000000751C: D3D7009C 0A031900
	v_mfma_i32_16x16x32_i8 v[156:159], a[2:3], v[142:143], v[156:159]// 000000007524: D3D7009C 0E731D02
	v_mfma_i32_16x16x32_i8 v[160:163], a[4:5], v[128:129], 0   // 00000000752C: D3D700A0 0A030104
	buffer_load_dwordx4 a[52:55], v36, s[12:15], 0 offen       // 000000007534: E05C1000 80833424
	v_mfma_i32_16x16x32_i8 v[160:163], a[6:7], v[130:131], v[160:163]// 00000000753C: D3D700A0 0E830506
	v_mfma_i32_16x16x32_i8 v[164:167], a[4:5], v[140:141], 0   // 000000007544: D3D700A4 0A031904
	v_mfma_i32_16x16x32_i8 v[164:167], a[6:7], v[142:143], v[164:167]// 00000000754C: D3D700A4 0E931D06
	v_mfma_i32_16x16x32_i8 v[168:171], a[8:9], v[128:129], 0   // 000000007554: D3D700A8 0A030108
	buffer_load_dwordx4 a[56:59], v37, s[12:15], 0 offen       // 00000000755C: E05C1000 80833825
	v_mfma_i32_16x16x32_i8 v[168:171], a[10:11], v[130:131], v[168:171]// 000000007564: D3D700A8 0EA3050A
	v_mfma_i32_16x16x32_i8 v[172:175], a[8:9], v[140:141], 0   // 00000000756C: D3D700AC 0A031908
	v_mfma_i32_16x16x32_i8 v[172:175], a[10:11], v[142:143], v[172:175]// 000000007574: D3D700AC 0EB31D0A
	v_mfma_i32_16x16x32_i8 v[176:179], a[12:13], v[128:129], 0 // 00000000757C: D3D700B0 0A03010C
	buffer_load_dwordx4 a[60:63], v38, s[12:15], 0 offen       // 000000007584: E05C1000 80833C26
	s_add_u32 s12, s78, s12                                    // 00000000758C: 800C0C4E
	s_addc_u32 s13, 0, s13                                     // 000000007590: 820D0D80
	v_mfma_i32_16x16x32_i8 v[176:179], a[14:15], v[130:131], v[176:179]// 000000007594: D3D700B0 0EC3050E
	v_mfma_i32_16x16x32_i8 v[180:183], a[12:13], v[140:141], 0 // 00000000759C: D3D700B4 0A03190C
	v_mfma_i32_16x16x32_i8 v[180:183], a[14:15], v[142:143], v[180:183]// 0000000075A4: D3D700B4 0ED31D0E
	s_waitcnt vmcnt(25)                                        // 0000000075AC: BF8C4F79
	v_mfma_i32_16x16x32_i8 v[152:155], a[16:17], v[132:133], v[152:155]// 0000000075B0: D3D70098 0E630910
	buffer_load_dwordx4 a[64:67], v35, s[12:15], 0 offen       // 0000000075B8: E05C1000 80834023
	v_mfma_i32_16x16x32_i8 v[152:155], a[18:19], v[134:135], v[152:155]// 0000000075C0: D3D70098 0E630D12
	v_mfma_i32_16x16x32_i8 v[156:159], a[16:17], v[144:145], v[156:159]// 0000000075C8: D3D7009C 0E732110
	v_mfma_i32_16x16x32_i8 v[156:159], a[18:19], v[146:147], v[156:159]// 0000000075D0: D3D7009C 0E732512
	v_mfma_i32_16x16x32_i8 v[160:163], a[20:21], v[132:133], v[160:163]// 0000000075D8: D3D700A0 0E830914
	buffer_load_dwordx4 a[68:71], v36, s[12:15], 0 offen       // 0000000075E0: E05C1000 80834424
	v_mfma_i32_16x16x32_i8 v[160:163], a[22:23], v[134:135], v[160:163]// 0000000075E8: D3D700A0 0E830D16
	v_mfma_i32_16x16x32_i8 v[164:167], a[20:21], v[144:145], v[164:167]// 0000000075F0: D3D700A4 0E932114
	v_mfma_i32_16x16x32_i8 v[164:167], a[22:23], v[146:147], v[164:167]// 0000000075F8: D3D700A4 0E932516
	v_mfma_i32_16x16x32_i8 v[168:171], a[24:25], v[132:133], v[168:171]// 000000007600: D3D700A8 0EA30918
	buffer_load_dwordx4 a[72:75], v37, s[12:15], 0 offen       // 000000007608: E05C1000 80834825
	v_mfma_i32_16x16x32_i8 v[168:171], a[26:27], v[134:135], v[168:171]// 000000007610: D3D700A8 0EA30D1A
	v_mfma_i32_16x16x32_i8 v[172:175], a[24:25], v[144:145], v[172:175]// 000000007618: D3D700AC 0EB32118
	v_mfma_i32_16x16x32_i8 v[172:175], a[26:27], v[146:147], v[172:175]// 000000007620: D3D700AC 0EB3251A
	v_mfma_i32_16x16x32_i8 v[176:179], a[28:29], v[132:133], v[176:179]// 000000007628: D3D700B0 0EC3091C
	buffer_load_dwordx4 a[76:79], v38, s[12:15], 0 offen       // 000000007630: E05C1000 80834C26
	s_add_u32 s12, s78, s12                                    // 000000007638: 800C0C4E
	s_addc_u32 s13, 0, s13                                     // 00000000763C: 820D0D80
	v_mfma_i32_16x16x32_i8 v[176:179], a[30:31], v[134:135], v[176:179]// 000000007640: D3D700B0 0EC30D1E
	v_mfma_i32_16x16x32_i8 v[180:183], a[28:29], v[144:145], v[180:183]// 000000007648: D3D700B4 0ED3211C
	v_mfma_i32_16x16x32_i8 v[180:183], a[30:31], v[146:147], v[180:183]// 000000007650: D3D700B4 0ED3251E
	s_waitcnt vmcnt(24)                                        // 000000007658: BF8C4F78
	v_mfma_i32_16x16x32_i8 v[152:155], a[32:33], v[136:137], v[152:155]// 00000000765C: D3D70098 0E631120
	buffer_load_dwordx4 a[80:83], v35, s[12:15], 0 offen       // 000000007664: E05C1000 80835023
	v_mfma_i32_16x16x32_i8 v[152:155], a[34:35], v[138:139], v[152:155]// 00000000766C: D3D70098 0E631522
	v_mfma_i32_16x16x32_i8 v[156:159], a[32:33], v[148:149], v[156:159]// 000000007674: D3D7009C 0E732920
	buffer_load_dword v12, v5, s[16:19], 0 offen               // 00000000767C: E0501000 80040C05
	v_mfma_i32_16x16x32_i8 v[156:159], a[34:35], v[150:151], v[156:159]// 000000007684: D3D7009C 0E732D22
	v_mfma_i32_16x16x32_i8 v[160:163], a[36:37], v[136:137], v[160:163]// 00000000768C: D3D700A0 0E831124
	buffer_load_dwordx4 a[84:87], v36, s[12:15], 0 offen       // 000000007694: E05C1000 80835424
	v_mfma_i32_16x16x32_i8 v[160:163], a[38:39], v[138:139], v[160:163]// 00000000769C: D3D700A0 0E831526
	v_mfma_i32_16x16x32_i8 v[164:167], a[36:37], v[148:149], v[164:167]// 0000000076A4: D3D700A4 0E932924
	v_mfma_i32_16x16x32_i8 v[164:167], a[38:39], v[150:151], v[164:167]// 0000000076AC: D3D700A4 0E932D26
	v_mfma_i32_16x16x32_i8 v[168:171], a[40:41], v[136:137], v[168:171]// 0000000076B4: D3D700A8 0EA31128
	buffer_load_dwordx4 a[88:91], v37, s[12:15], 0 offen       // 0000000076BC: E05C1000 80835825
	v_mfma_i32_16x16x32_i8 v[168:171], a[42:43], v[138:139], v[168:171]// 0000000076C4: D3D700A8 0EA3152A
	v_mfma_i32_16x16x32_i8 v[172:175], a[40:41], v[148:149], v[172:175]// 0000000076CC: D3D700AC 0EB32928
	v_mfma_i32_16x16x32_i8 v[172:175], a[42:43], v[150:151], v[172:175]// 0000000076D4: D3D700AC 0EB32D2A
	v_mfma_i32_16x16x32_i8 v[176:179], a[44:45], v[136:137], v[176:179]// 0000000076DC: D3D700B0 0EC3112C
	buffer_load_dwordx4 a[92:95], v38, s[12:15], 0 offen       // 0000000076E4: E05C1000 80835C26
	v_mfma_i32_16x16x32_i8 v[176:179], a[46:47], v[138:139], v[176:179]// 0000000076EC: D3D700B0 0EC3152E
	v_mfma_i32_16x16x32_i8 v[180:183], a[44:45], v[148:149], v[180:183]// 0000000076F4: D3D700B4 0ED3292C
	v_mfma_i32_16x16x32_i8 v[180:183], a[46:47], v[150:151], v[180:183]// 0000000076FC: D3D700B4 0ED32D2E
	s_add_u32 s60, 0x200, s80                                  // 000000007704: 803C50FF 00000200
	s_cmp_lt_u32 s60, s81                                      // 00000000770C: BF0A513C
	s_cselect_b32 s56, s56, 0                                  // 000000007710: 85388038
	s_cselect_b32 s78, s78, 0                                  // 000000007714: 854E804E
	s_cselect_b32 s79, s79, 0                                  // 000000007718: 854F804F
	s_add_u32 s12, s56, s12                                    // 00000000771C: 800C0C38
	s_addc_u32 s13, 0, s13                                     // 000000007720: 820D0D80
	s_add_u32 s16, s79, s16                                    // 000000007724: 8010104F
	s_addc_u32 s17, 0, s17                                     // 000000007728: 82111180
	v_cvt_f32_i32_e32 v152, v152                               // 00000000772C: 7F300B98
	v_cvt_f32_i32_e32 v153, v153                               // 000000007730: 7F320B99
	v_cvt_f32_i32_e32 v154, v154                               // 000000007734: 7F340B9A
	v_cvt_f32_i32_e32 v155, v155                               // 000000007738: 7F360B9B
	v_mul_f32_e32 v152, v22, v152                              // 00000000773C: 0B313116
	v_mul_f32_e32 v153, v22, v153                              // 000000007740: 0B333316
	v_mul_f32_e32 v154, v22, v154                              // 000000007744: 0B353516
	v_mul_f32_e32 v155, v22, v155                              // 000000007748: 0B373716
	v_mul_f32_dpp v152, v11, v152 row_newbcast:0 row_mask:0xf bank_mask:0xf// 00000000774C: 0B3130FA FF01500B
	v_mul_f32_dpp v153, v11, v153 row_newbcast:1 row_mask:0xf bank_mask:0xf// 000000007754: 0B3332FA FF01510B
	v_mul_f32_dpp v154, v11, v154 row_newbcast:2 row_mask:0xf bank_mask:0xf// 00000000775C: 0B3534FA FF01520B
	v_mul_f32_dpp v155, v11, v155 row_newbcast:3 row_mask:0xf bank_mask:0xf// 000000007764: 0B3736FA FF01530B
	v_mul_f32_e32 v152, v17, v152                              // 00000000776C: 0B313111
	v_mul_f32_e32 v153, v17, v153                              // 000000007770: 0B333311
	v_mul_f32_e32 v154, v17, v154                              // 000000007774: 0B353511
	v_mul_f32_e32 v155, v17, v155                              // 000000007778: 0B373711
	v_cvt_f32_i32_e32 v156, v156                               // 00000000777C: 7F380B9C
	v_cvt_f32_i32_e32 v157, v157                               // 000000007780: 7F3A0B9D
	v_cvt_f32_i32_e32 v158, v158                               // 000000007784: 7F3C0B9E
	v_cvt_f32_i32_e32 v159, v159                               // 000000007788: 7F3E0B9F
	v_mul_f32_e32 v156, v23, v156                              // 00000000778C: 0B393917
	v_mul_f32_e32 v157, v23, v157                              // 000000007790: 0B3B3B17
	v_mul_f32_e32 v158, v23, v158                              // 000000007794: 0B3D3D17
	v_mul_f32_e32 v159, v23, v159                              // 000000007798: 0B3F3F17
	v_mul_f32_dpp v156, v11, v156 row_newbcast:0 row_mask:0xf bank_mask:0xf// 00000000779C: 0B3938FA FF01500B
	v_mul_f32_dpp v157, v11, v157 row_newbcast:1 row_mask:0xf bank_mask:0xf// 0000000077A4: 0B3B3AFA FF01510B
	v_mul_f32_dpp v158, v11, v158 row_newbcast:2 row_mask:0xf bank_mask:0xf// 0000000077AC: 0B3D3CFA FF01520B
	v_mul_f32_dpp v159, v11, v159 row_newbcast:3 row_mask:0xf bank_mask:0xf// 0000000077B4: 0B3F3EFA FF01530B
	v_mul_f32_e32 v156, v18, v156                              // 0000000077BC: 0B393912
	v_mul_f32_e32 v157, v18, v157                              // 0000000077C0: 0B3B3B12
	v_mul_f32_e32 v158, v18, v158                              // 0000000077C4: 0B3D3D12
	v_mul_f32_e32 v159, v18, v159                              // 0000000077C8: 0B3F3F12
	v_cvt_f32_i32_e32 v160, v160                               // 0000000077CC: 7F400BA0
	v_cvt_f32_i32_e32 v161, v161                               // 0000000077D0: 7F420BA1
	v_cvt_f32_i32_e32 v162, v162                               // 0000000077D4: 7F440BA2
	v_cvt_f32_i32_e32 v163, v163                               // 0000000077D8: 7F460BA3
	v_mul_f32_e32 v160, v22, v160                              // 0000000077DC: 0B414116
	v_mul_f32_e32 v161, v22, v161                              // 0000000077E0: 0B434316
	v_mul_f32_e32 v162, v22, v162                              // 0000000077E4: 0B454516
	v_mul_f32_e32 v163, v22, v163                              // 0000000077E8: 0B474716
	v_mul_f32_dpp v160, v11, v160 row_newbcast:4 row_mask:0xf bank_mask:0xf// 0000000077EC: 0B4140FA FF01540B
	v_mul_f32_dpp v161, v11, v161 row_newbcast:5 row_mask:0xf bank_mask:0xf// 0000000077F4: 0B4342FA FF01550B
	v_mul_f32_dpp v162, v11, v162 row_newbcast:6 row_mask:0xf bank_mask:0xf// 0000000077FC: 0B4544FA FF01560B
	v_mul_f32_dpp v163, v11, v163 row_newbcast:7 row_mask:0xf bank_mask:0xf// 000000007804: 0B4746FA FF01570B
	v_mul_f32_e32 v160, v17, v160                              // 00000000780C: 0B414111
	v_mul_f32_e32 v161, v17, v161                              // 000000007810: 0B434311
	v_mul_f32_e32 v162, v17, v162                              // 000000007814: 0B454511
	v_mul_f32_e32 v163, v17, v163                              // 000000007818: 0B474711
	v_cvt_f32_i32_e32 v164, v164                               // 00000000781C: 7F480BA4
	v_cvt_f32_i32_e32 v165, v165                               // 000000007820: 7F4A0BA5
	v_cvt_f32_i32_e32 v166, v166                               // 000000007824: 7F4C0BA6
	v_cvt_f32_i32_e32 v167, v167                               // 000000007828: 7F4E0BA7
	v_mul_f32_e32 v164, v23, v164                              // 00000000782C: 0B494917
	v_mul_f32_e32 v165, v23, v165                              // 000000007830: 0B4B4B17
	v_mul_f32_e32 v166, v23, v166                              // 000000007834: 0B4D4D17
	v_mul_f32_e32 v167, v23, v167                              // 000000007838: 0B4F4F17
	v_mul_f32_dpp v164, v11, v164 row_newbcast:4 row_mask:0xf bank_mask:0xf// 00000000783C: 0B4948FA FF01540B
	v_mul_f32_dpp v165, v11, v165 row_newbcast:5 row_mask:0xf bank_mask:0xf// 000000007844: 0B4B4AFA FF01550B
	v_mul_f32_dpp v166, v11, v166 row_newbcast:6 row_mask:0xf bank_mask:0xf// 00000000784C: 0B4D4CFA FF01560B
	v_mul_f32_dpp v167, v11, v167 row_newbcast:7 row_mask:0xf bank_mask:0xf// 000000007854: 0B4F4EFA FF01570B
	v_mul_f32_e32 v164, v18, v164                              // 00000000785C: 0B494912
	v_mul_f32_e32 v165, v18, v165                              // 000000007860: 0B4B4B12
	v_mul_f32_e32 v166, v18, v166                              // 000000007864: 0B4D4D12
	v_mul_f32_e32 v167, v18, v167                              // 000000007868: 0B4F4F12
	v_cvt_f32_i32_e32 v168, v168                               // 00000000786C: 7F500BA8
	v_cvt_f32_i32_e32 v169, v169                               // 000000007870: 7F520BA9
	v_cvt_f32_i32_e32 v170, v170                               // 000000007874: 7F540BAA
	v_cvt_f32_i32_e32 v171, v171                               // 000000007878: 7F560BAB
	v_mul_f32_e32 v168, v22, v168                              // 00000000787C: 0B515116
	v_mul_f32_e32 v169, v22, v169                              // 000000007880: 0B535316
	v_mul_f32_e32 v170, v22, v170                              // 000000007884: 0B555516
	v_mul_f32_e32 v171, v22, v171                              // 000000007888: 0B575716
	v_mul_f32_dpp v168, v11, v168 row_newbcast:8 row_mask:0xf bank_mask:0xf// 00000000788C: 0B5150FA FF01580B
	v_mul_f32_dpp v169, v11, v169 row_newbcast:9 row_mask:0xf bank_mask:0xf// 000000007894: 0B5352FA FF01590B
	v_mul_f32_dpp v170, v11, v170 row_newbcast:10 row_mask:0xf bank_mask:0xf// 00000000789C: 0B5554FA FF015A0B
	v_mul_f32_dpp v171, v11, v171 row_newbcast:11 row_mask:0xf bank_mask:0xf// 0000000078A4: 0B5756FA FF015B0B
	v_mul_f32_e32 v168, v17, v168                              // 0000000078AC: 0B515111
	v_mul_f32_e32 v169, v17, v169                              // 0000000078B0: 0B535311
	v_mul_f32_e32 v170, v17, v170                              // 0000000078B4: 0B555511
	v_mul_f32_e32 v171, v17, v171                              // 0000000078B8: 0B575711
	v_cvt_f32_i32_e32 v172, v172                               // 0000000078BC: 7F580BAC
	v_cvt_f32_i32_e32 v173, v173                               // 0000000078C0: 7F5A0BAD
	v_cvt_f32_i32_e32 v174, v174                               // 0000000078C4: 7F5C0BAE
	v_cvt_f32_i32_e32 v175, v175                               // 0000000078C8: 7F5E0BAF
	v_mul_f32_e32 v172, v23, v172                              // 0000000078CC: 0B595917
	v_mul_f32_e32 v173, v23, v173                              // 0000000078D0: 0B5B5B17
	v_mul_f32_e32 v174, v23, v174                              // 0000000078D4: 0B5D5D17
	v_mul_f32_e32 v175, v23, v175                              // 0000000078D8: 0B5F5F17
	v_mul_f32_dpp v172, v11, v172 row_newbcast:8 row_mask:0xf bank_mask:0xf// 0000000078DC: 0B5958FA FF01580B
	v_mul_f32_dpp v173, v11, v173 row_newbcast:9 row_mask:0xf bank_mask:0xf// 0000000078E4: 0B5B5AFA FF01590B
	v_mul_f32_dpp v174, v11, v174 row_newbcast:10 row_mask:0xf bank_mask:0xf// 0000000078EC: 0B5D5CFA FF015A0B
	v_mul_f32_dpp v175, v11, v175 row_newbcast:11 row_mask:0xf bank_mask:0xf// 0000000078F4: 0B5F5EFA FF015B0B
	v_mul_f32_e32 v172, v18, v172                              // 0000000078FC: 0B595912
	v_mul_f32_e32 v173, v18, v173                              // 000000007900: 0B5B5B12
	v_mul_f32_e32 v174, v18, v174                              // 000000007904: 0B5D5D12
	v_mul_f32_e32 v175, v18, v175                              // 000000007908: 0B5F5F12
	v_cvt_f32_i32_e32 v176, v176                               // 00000000790C: 7F600BB0
	v_cvt_f32_i32_e32 v177, v177                               // 000000007910: 7F620BB1
	v_cvt_f32_i32_e32 v178, v178                               // 000000007914: 7F640BB2
	v_cvt_f32_i32_e32 v179, v179                               // 000000007918: 7F660BB3
	v_mul_f32_e32 v176, v22, v176                              // 00000000791C: 0B616116
	v_mul_f32_e32 v177, v22, v177                              // 000000007920: 0B636316
	v_mul_f32_e32 v178, v22, v178                              // 000000007924: 0B656516
	v_mul_f32_e32 v179, v22, v179                              // 000000007928: 0B676716
	v_mul_f32_dpp v176, v11, v176 row_newbcast:12 row_mask:0xf bank_mask:0xf// 00000000792C: 0B6160FA FF015C0B
	v_mul_f32_dpp v177, v11, v177 row_newbcast:13 row_mask:0xf bank_mask:0xf// 000000007934: 0B6362FA FF015D0B
	v_mul_f32_dpp v178, v11, v178 row_newbcast:14 row_mask:0xf bank_mask:0xf// 00000000793C: 0B6564FA FF015E0B
	v_mul_f32_dpp v179, v11, v179 row_newbcast:15 row_mask:0xf bank_mask:0xf// 000000007944: 0B6766FA FF015F0B
	v_mul_f32_e32 v176, v17, v176                              // 00000000794C: 0B616111
	v_mul_f32_e32 v177, v17, v177                              // 000000007950: 0B636311
	v_mul_f32_e32 v178, v17, v178                              // 000000007954: 0B656511
	v_mul_f32_e32 v179, v17, v179                              // 000000007958: 0B676711
	v_cvt_f32_i32_e32 v180, v180                               // 00000000795C: 7F680BB4
	v_cvt_f32_i32_e32 v181, v181                               // 000000007960: 7F6A0BB5
	v_cvt_f32_i32_e32 v182, v182                               // 000000007964: 7F6C0BB6
	v_cvt_f32_i32_e32 v183, v183                               // 000000007968: 7F6E0BB7
	v_mul_f32_e32 v180, v23, v180                              // 00000000796C: 0B696917
	v_mul_f32_e32 v181, v23, v181                              // 000000007970: 0B6B6B17
	v_mul_f32_e32 v182, v23, v182                              // 000000007974: 0B6D6D17
	v_mul_f32_e32 v183, v23, v183                              // 000000007978: 0B6F6F17
	v_mul_f32_dpp v180, v11, v180 row_newbcast:12 row_mask:0xf bank_mask:0xf// 00000000797C: 0B6968FA FF015C0B
	v_mul_f32_dpp v181, v11, v181 row_newbcast:13 row_mask:0xf bank_mask:0xf// 000000007984: 0B6B6AFA FF015D0B
	v_mul_f32_dpp v182, v11, v182 row_newbcast:14 row_mask:0xf bank_mask:0xf// 00000000798C: 0B6D6CFA FF015E0B
	v_mul_f32_dpp v183, v11, v183 row_newbcast:15 row_mask:0xf bank_mask:0xf// 000000007994: 0B6F6EFA FF015F0B
	v_mul_f32_e32 v180, v18, v180                              // 00000000799C: 0B696912
	v_mul_f32_e32 v181, v18, v181                              // 0000000079A0: 0B6B6B12
	v_mul_f32_e32 v182, v18, v182                              // 0000000079A4: 0B6D6D12
	v_mul_f32_e32 v183, v18, v183                              // 0000000079A8: 0B6F6F12
	v_cmp_u_f32_e64 s[48:49], v152, v152                       // 0000000079AC: D0480030 00033198
	v_add3_u32 v39, v152, v42, 1                               // 0000000079B4: D1FF0027 02065598
	v_cndmask_b32_e64 v44, v39, v41, s[48:49]                  // 0000000079BC: D100002C 00C25327
	v_cmp_u_f32_e64 s[48:49], v153, v153                       // 0000000079C4: D0480030 00033399
	v_add3_u32 v39, v153, v42, 1                               // 0000000079CC: D1FF0027 02065599
	v_cndmask_b32_e64 v45, v39, v41, s[48:49]                  // 0000000079D4: D100002D 00C25327
	v_perm_b32 v152, v45, v44, s52                             // 0000000079DC: D1ED0098 00D2592D
	v_cmp_u_f32_e64 s[48:49], v154, v154                       // 0000000079E4: D0480030 0003359A
	v_add3_u32 v39, v154, v42, 1                               // 0000000079EC: D1FF0027 0206559A
	v_cndmask_b32_e64 v44, v39, v41, s[48:49]                  // 0000000079F4: D100002C 00C25327
	v_cmp_u_f32_e64 s[48:49], v155, v155                       // 0000000079FC: D0480030 0003379B
	v_add3_u32 v39, v155, v42, 1                               // 000000007A04: D1FF0027 0206559B
	v_cndmask_b32_e64 v45, v39, v41, s[48:49]                  // 000000007A0C: D100002D 00C25327
	v_perm_b32 v153, v45, v44, s52                             // 000000007A14: D1ED0099 00D2592D
	v_cmp_u_f32_e64 s[48:49], v156, v156                       // 000000007A1C: D0480030 0003399C
	v_add3_u32 v39, v156, v42, 1                               // 000000007A24: D1FF0027 0206559C
	v_cndmask_b32_e64 v44, v39, v41, s[48:49]                  // 000000007A2C: D100002C 00C25327
	v_cmp_u_f32_e64 s[48:49], v157, v157                       // 000000007A34: D0480030 00033B9D
	v_add3_u32 v39, v157, v42, 1                               // 000000007A3C: D1FF0027 0206559D
	v_cndmask_b32_e64 v45, v39, v41, s[48:49]                  // 000000007A44: D100002D 00C25327
	v_perm_b32 v154, v45, v44, s52                             // 000000007A4C: D1ED009A 00D2592D
	v_cmp_u_f32_e64 s[48:49], v158, v158                       // 000000007A54: D0480030 00033D9E
	v_add3_u32 v39, v158, v42, 1                               // 000000007A5C: D1FF0027 0206559E
	v_cndmask_b32_e64 v44, v39, v41, s[48:49]                  // 000000007A64: D100002C 00C25327
	v_cmp_u_f32_e64 s[48:49], v159, v159                       // 000000007A6C: D0480030 00033F9F
	v_add3_u32 v39, v159, v42, 1                               // 000000007A74: D1FF0027 0206559F
	v_cndmask_b32_e64 v45, v39, v41, s[48:49]                  // 000000007A7C: D100002D 00C25327
	v_perm_b32 v155, v45, v44, s52                             // 000000007A84: D1ED009B 00D2592D
	v_cmp_u_f32_e64 s[48:49], v160, v160                       // 000000007A8C: D0480030 000341A0
	v_add3_u32 v39, v160, v42, 1                               // 000000007A94: D1FF0027 020655A0
	v_cndmask_b32_e64 v44, v39, v41, s[48:49]                  // 000000007A9C: D100002C 00C25327
	v_cmp_u_f32_e64 s[48:49], v161, v161                       // 000000007AA4: D0480030 000343A1
	v_add3_u32 v39, v161, v42, 1                               // 000000007AAC: D1FF0027 020655A1
	v_cndmask_b32_e64 v45, v39, v41, s[48:49]                  // 000000007AB4: D100002D 00C25327
	v_perm_b32 v156, v45, v44, s52                             // 000000007ABC: D1ED009C 00D2592D
	v_cmp_u_f32_e64 s[48:49], v162, v162                       // 000000007AC4: D0480030 000345A2
	v_add3_u32 v39, v162, v42, 1                               // 000000007ACC: D1FF0027 020655A2
	v_cndmask_b32_e64 v44, v39, v41, s[48:49]                  // 000000007AD4: D100002C 00C25327
	v_cmp_u_f32_e64 s[48:49], v163, v163                       // 000000007ADC: D0480030 000347A3
	v_add3_u32 v39, v163, v42, 1                               // 000000007AE4: D1FF0027 020655A3
	v_cndmask_b32_e64 v45, v39, v41, s[48:49]                  // 000000007AEC: D100002D 00C25327
	v_perm_b32 v157, v45, v44, s52                             // 000000007AF4: D1ED009D 00D2592D
	v_cmp_u_f32_e64 s[48:49], v164, v164                       // 000000007AFC: D0480030 000349A4
	v_add3_u32 v39, v164, v42, 1                               // 000000007B04: D1FF0027 020655A4
	v_cndmask_b32_e64 v44, v39, v41, s[48:49]                  // 000000007B0C: D100002C 00C25327
	v_cmp_u_f32_e64 s[48:49], v165, v165                       // 000000007B14: D0480030 00034BA5
	v_add3_u32 v39, v165, v42, 1                               // 000000007B1C: D1FF0027 020655A5
	v_cndmask_b32_e64 v45, v39, v41, s[48:49]                  // 000000007B24: D100002D 00C25327
	v_perm_b32 v158, v45, v44, s52                             // 000000007B2C: D1ED009E 00D2592D
	v_cmp_u_f32_e64 s[48:49], v166, v166                       // 000000007B34: D0480030 00034DA6
	v_add3_u32 v39, v166, v42, 1                               // 000000007B3C: D1FF0027 020655A6
	v_cndmask_b32_e64 v44, v39, v41, s[48:49]                  // 000000007B44: D100002C 00C25327
	v_cmp_u_f32_e64 s[48:49], v167, v167                       // 000000007B4C: D0480030 00034FA7
	v_add3_u32 v39, v167, v42, 1                               // 000000007B54: D1FF0027 020655A7
	v_cndmask_b32_e64 v45, v39, v41, s[48:49]                  // 000000007B5C: D100002D 00C25327
	v_perm_b32 v159, v45, v44, s52                             // 000000007B64: D1ED009F 00D2592D
	v_cmp_u_f32_e64 s[48:49], v168, v168                       // 000000007B6C: D0480030 000351A8
	v_add3_u32 v39, v168, v42, 1                               // 000000007B74: D1FF0027 020655A8
	v_cndmask_b32_e64 v44, v39, v41, s[48:49]                  // 000000007B7C: D100002C 00C25327
	v_cmp_u_f32_e64 s[48:49], v169, v169                       // 000000007B84: D0480030 000353A9
	v_add3_u32 v39, v169, v42, 1                               // 000000007B8C: D1FF0027 020655A9
	v_cndmask_b32_e64 v45, v39, v41, s[48:49]                  // 000000007B94: D100002D 00C25327
	v_perm_b32 v160, v45, v44, s52                             // 000000007B9C: D1ED00A0 00D2592D
	v_cmp_u_f32_e64 s[48:49], v170, v170                       // 000000007BA4: D0480030 000355AA
	v_add3_u32 v39, v170, v42, 1                               // 000000007BAC: D1FF0027 020655AA
	v_cndmask_b32_e64 v44, v39, v41, s[48:49]                  // 000000007BB4: D100002C 00C25327
	v_cmp_u_f32_e64 s[48:49], v171, v171                       // 000000007BBC: D0480030 000357AB
	v_add3_u32 v39, v171, v42, 1                               // 000000007BC4: D1FF0027 020655AB
	v_cndmask_b32_e64 v45, v39, v41, s[48:49]                  // 000000007BCC: D100002D 00C25327
	v_perm_b32 v161, v45, v44, s52                             // 000000007BD4: D1ED00A1 00D2592D
	v_cmp_u_f32_e64 s[48:49], v172, v172                       // 000000007BDC: D0480030 000359AC
	v_add3_u32 v39, v172, v42, 1                               // 000000007BE4: D1FF0027 020655AC
	v_cndmask_b32_e64 v44, v39, v41, s[48:49]                  // 000000007BEC: D100002C 00C25327
	v_cmp_u_f32_e64 s[48:49], v173, v173                       // 000000007BF4: D0480030 00035BAD
	v_add3_u32 v39, v173, v42, 1                               // 000000007BFC: D1FF0027 020655AD
	v_cndmask_b32_e64 v45, v39, v41, s[48:49]                  // 000000007C04: D100002D 00C25327
	v_perm_b32 v162, v45, v44, s52                             // 000000007C0C: D1ED00A2 00D2592D
	v_cmp_u_f32_e64 s[48:49], v174, v174                       // 000000007C14: D0480030 00035DAE
	v_add3_u32 v39, v174, v42, 1                               // 000000007C1C: D1FF0027 020655AE
	v_cndmask_b32_e64 v44, v39, v41, s[48:49]                  // 000000007C24: D100002C 00C25327
	v_cmp_u_f32_e64 s[48:49], v175, v175                       // 000000007C2C: D0480030 00035FAF
	v_add3_u32 v39, v175, v42, 1                               // 000000007C34: D1FF0027 020655AF
	v_cndmask_b32_e64 v45, v39, v41, s[48:49]                  // 000000007C3C: D100002D 00C25327
	v_perm_b32 v163, v45, v44, s52                             // 000000007C44: D1ED00A3 00D2592D
	v_cmp_u_f32_e64 s[48:49], v176, v176                       // 000000007C4C: D0480030 000361B0
	v_add3_u32 v39, v176, v42, 1                               // 000000007C54: D1FF0027 020655B0
	v_cndmask_b32_e64 v44, v39, v41, s[48:49]                  // 000000007C5C: D100002C 00C25327
	v_cmp_u_f32_e64 s[48:49], v177, v177                       // 000000007C64: D0480030 000363B1
	v_add3_u32 v39, v177, v42, 1                               // 000000007C6C: D1FF0027 020655B1
	v_cndmask_b32_e64 v45, v39, v41, s[48:49]                  // 000000007C74: D100002D 00C25327
	v_perm_b32 v164, v45, v44, s52                             // 000000007C7C: D1ED00A4 00D2592D
	v_cmp_u_f32_e64 s[48:49], v178, v178                       // 000000007C84: D0480030 000365B2
	v_add3_u32 v39, v178, v42, 1                               // 000000007C8C: D1FF0027 020655B2
	v_cndmask_b32_e64 v44, v39, v41, s[48:49]                  // 000000007C94: D100002C 00C25327
	v_cmp_u_f32_e64 s[48:49], v179, v179                       // 000000007C9C: D0480030 000367B3
	v_add3_u32 v39, v179, v42, 1                               // 000000007CA4: D1FF0027 020655B3
	v_cndmask_b32_e64 v45, v39, v41, s[48:49]                  // 000000007CAC: D100002D 00C25327
	v_perm_b32 v165, v45, v44, s52                             // 000000007CB4: D1ED00A5 00D2592D
	v_cmp_u_f32_e64 s[48:49], v180, v180                       // 000000007CBC: D0480030 000369B4
	v_add3_u32 v39, v180, v42, 1                               // 000000007CC4: D1FF0027 020655B4
	v_cndmask_b32_e64 v44, v39, v41, s[48:49]                  // 000000007CCC: D100002C 00C25327
	v_cmp_u_f32_e64 s[48:49], v181, v181                       // 000000007CD4: D0480030 00036BB5
	v_add3_u32 v39, v181, v42, 1                               // 000000007CDC: D1FF0027 020655B5
	v_cndmask_b32_e64 v45, v39, v41, s[48:49]                  // 000000007CE4: D100002D 00C25327
	v_perm_b32 v166, v45, v44, s52                             // 000000007CEC: D1ED00A6 00D2592D
	v_cmp_u_f32_e64 s[48:49], v182, v182                       // 000000007CF4: D0480030 00036DB6
	v_add3_u32 v39, v182, v42, 1                               // 000000007CFC: D1FF0027 020655B6
	v_cndmask_b32_e64 v44, v39, v41, s[48:49]                  // 000000007D04: D100002C 00C25327
	v_cmp_u_f32_e64 s[48:49], v183, v183                       // 000000007D0C: D0480030 00036FB7
	v_add3_u32 v39, v183, v42, 1                               // 000000007D14: D1FF0027 020655B7
	v_cndmask_b32_e64 v45, v39, v41, s[48:49]                  // 000000007D1C: D100002D 00C25327
	v_perm_b32 v167, v45, v44, s52                             // 000000007D24: D1ED00A7 00D2592D
	ds_write_b64 v3, v[152:153] offset:24832                   // 000000007D2C: D89A6100 00009803
	ds_write_b64 v3, v[154:155] offset:33536                   // 000000007D34: D89A8300 00009A03
	ds_write_b64 v3, v[156:157] offset:27008                   // 000000007D3C: D89A6980 00009C03
	ds_write_b64 v3, v[158:159] offset:35712                   // 000000007D44: D89A8B80 00009E03
	ds_write_b64 v3, v[160:161] offset:29184                   // 000000007D4C: D89A7200 0000A003
	ds_write_b64 v3, v[162:163] offset:37888                   // 000000007D54: D89A9400 0000A203
	ds_write_b64 v3, v[164:165] offset:31360                   // 000000007D5C: D89A7A80 0000A403
	ds_write_b64 v3, v[166:167] offset:40064                   // 000000007D64: D89A9C80 0000A603
	s_waitcnt lgkmcnt(0)                                       // 000000007D6C: BF8CC07F
	s_barrier                                                  // 000000007D70: BF8A0000
	ds_read_b32 v64, v4 offset:24832                           // 000000007D74: D86C6100 40000004
	ds_read_b32 v65, v4 offset:29184                           // 000000007D7C: D86C7200 41000004
	ds_read_b32 v66, v4 offset:24864                           // 000000007D84: D86C6120 42000004
	ds_read_b32 v67, v4 offset:29216                           // 000000007D8C: D86C7220 43000004
	ds_read_b32 v68, v4 offset:24896                           // 000000007D94: D86C6140 44000004
	ds_read_b32 v69, v4 offset:29248                           // 000000007D9C: D86C7240 45000004
	ds_read_b32 v70, v4 offset:24928                           // 000000007DA4: D86C6160 46000004
	ds_read_b32 v71, v4 offset:29280                           // 000000007DAC: D86C7260 47000004
	ds_read_b32 v72, v4 offset:33536                           // 000000007DB4: D86C8300 48000004
	ds_read_b32 v73, v4 offset:37888                           // 000000007DBC: D86C9400 49000004
	ds_read_b32 v74, v4 offset:33568                           // 000000007DC4: D86C8320 4A000004
	ds_read_b32 v75, v4 offset:37920                           // 000000007DCC: D86C9420 4B000004
	ds_read_b32 v76, v4 offset:33600                           // 000000007DD4: D86C8340 4C000004
	ds_read_b32 v77, v4 offset:37952                           // 000000007DDC: D86C9440 4D000004
	ds_read_b32 v78, v4 offset:33632                           // 000000007DE4: D86C8360 4E000004
	ds_read_b32 v79, v4 offset:37984                           // 000000007DEC: D86C9460 4F000004
	s_waitcnt lgkmcnt(0)                                       // 000000007DF4: BF8CC07F
	s_mov_b64 exec, s[20:21]                                   // 000000007DF8: BEFE0114
	global_atomic_pk_add_bf16 v80, v64, s[8:9]                 // 000000007DFC: DD488000 00084050
	s_mov_b64 exec, s[36:37]                                   // 000000007E04: BEFE0124
	s_mov_b64 exec, s[20:21]                                   // 000000007E08: BEFE0114
	global_atomic_pk_add_bf16 v80, v65, s[8:9] offset:256      // 000000007E0C: DD488100 00084150
	s_mov_b64 exec, s[36:37]                                   // 000000007E14: BEFE0124
	s_mov_b64 exec, s[22:23]                                   // 000000007E18: BEFE0116
	global_atomic_pk_add_bf16 v82, v66, s[8:9]                 // 000000007E1C: DD488000 00084252
	s_mov_b64 exec, s[36:37]                                   // 000000007E24: BEFE0124
	s_mov_b64 exec, s[22:23]                                   // 000000007E28: BEFE0116
	global_atomic_pk_add_bf16 v82, v67, s[8:9] offset:256      // 000000007E2C: DD488100 00084352
	s_mov_b64 exec, s[36:37]                                   // 000000007E34: BEFE0124
	s_mov_b64 exec, s[24:25]                                   // 000000007E38: BEFE0118
	global_atomic_pk_add_bf16 v84, v68, s[8:9]                 // 000000007E3C: DD488000 00084454
	s_mov_b64 exec, s[36:37]                                   // 000000007E44: BEFE0124
	s_mov_b64 exec, s[24:25]                                   // 000000007E48: BEFE0118
	global_atomic_pk_add_bf16 v84, v69, s[8:9] offset:256      // 000000007E4C: DD488100 00084554
	s_mov_b64 exec, s[36:37]                                   // 000000007E54: BEFE0124
	s_mov_b64 exec, s[26:27]                                   // 000000007E58: BEFE011A
	global_atomic_pk_add_bf16 v86, v70, s[8:9]                 // 000000007E5C: DD488000 00084656
	s_mov_b64 exec, s[36:37]                                   // 000000007E64: BEFE0124
	s_mov_b64 exec, s[26:27]                                   // 000000007E68: BEFE011A
	global_atomic_pk_add_bf16 v86, v71, s[8:9] offset:256      // 000000007E6C: DD488100 00084756
	s_mov_b64 exec, s[36:37]                                   // 000000007E74: BEFE0124
	s_mov_b64 exec, s[28:29]                                   // 000000007E78: BEFE011C
	global_atomic_pk_add_bf16 v88, v72, s[8:9]                 // 000000007E7C: DD488000 00084858
	s_mov_b64 exec, s[36:37]                                   // 000000007E84: BEFE0124
	s_mov_b64 exec, s[28:29]                                   // 000000007E88: BEFE011C
	global_atomic_pk_add_bf16 v88, v73, s[8:9] offset:256      // 000000007E8C: DD488100 00084958
	s_mov_b64 exec, s[36:37]                                   // 000000007E94: BEFE0124
	s_mov_b64 exec, s[30:31]                                   // 000000007E98: BEFE011E
	global_atomic_pk_add_bf16 v90, v74, s[8:9]                 // 000000007E9C: DD488000 00084A5A
	s_mov_b64 exec, s[36:37]                                   // 000000007EA4: BEFE0124
	s_mov_b64 exec, s[30:31]                                   // 000000007EA8: BEFE011E
	global_atomic_pk_add_bf16 v90, v75, s[8:9] offset:256      // 000000007EAC: DD488100 00084B5A
	s_mov_b64 exec, s[36:37]                                   // 000000007EB4: BEFE0124
	s_mov_b64 exec, s[32:33]                                   // 000000007EB8: BEFE0120
	global_atomic_pk_add_bf16 v92, v76, s[8:9]                 // 000000007EBC: DD488000 00084C5C
	s_mov_b64 exec, s[36:37]                                   // 000000007EC4: BEFE0124
	s_mov_b64 exec, s[32:33]                                   // 000000007EC8: BEFE0120
	global_atomic_pk_add_bf16 v92, v77, s[8:9] offset:256      // 000000007ECC: DD488100 00084D5C
	s_mov_b64 exec, s[36:37]                                   // 000000007ED4: BEFE0124
	s_mov_b64 exec, s[34:35]                                   // 000000007ED8: BEFE0122
	global_atomic_pk_add_bf16 v94, v78, s[8:9]                 // 000000007EDC: DD488000 00084E5E
	s_mov_b64 exec, s[36:37]                                   // 000000007EE4: BEFE0124
	s_mov_b64 exec, s[34:35]                                   // 000000007EE8: BEFE0122
	global_atomic_pk_add_bf16 v94, v79, s[8:9] offset:256      // 000000007EEC: DD488100 00084F5E
	s_mov_b64 exec, s[36:37]                                   // 000000007EF4: BEFE0124
	s_add_u32 s8, s59, s8                                      // 000000007EF8: 8008083B
	s_addc_u32 s9, 0, s9                                       // 000000007EFC: 82090980
	s_addk_i32 s80, 0x100                                      // 000000007F00: B7500100
	s_cmp_lt_i32 s80, s81                                      // 000000007F04: BF045150
	s_cbranch_scc0 label_0CD8                                  // 000000007F08: BF84F7D5
	s_waitcnt vmcnt(25)                                        // 000000007F0C: BF8C4F79
	s_barrier                                                  // 000000007F10: BF8A0000
	v_mfma_i32_16x16x32_i8 v[184:187], a[48:49], v[128:129], 0 // 000000007F14: D3D700B8 0A030130
	buffer_load_dwordx4 a[0:3], v35, s[12:15], 0 offen         // 000000007F1C: E05C1000 80830023
	v_mfma_i32_16x16x32_i8 v[184:187], a[50:51], v[130:131], v[184:187]// 000000007F24: D3D700B8 0EE30532
	v_mfma_i32_16x16x32_i8 v[188:191], a[48:49], v[140:141], 0 // 000000007F2C: D3D700BC 0A031930
	v_mfma_i32_16x16x32_i8 v[188:191], a[50:51], v[142:143], v[188:191]// 000000007F34: D3D700BC 0EF31D32
	v_mfma_i32_16x16x32_i8 v[192:195], a[52:53], v[128:129], 0 // 000000007F3C: D3D700C0 0A030134
	buffer_load_dwordx4 a[4:7], v36, s[12:15], 0 offen         // 000000007F44: E05C1000 80830424
	v_mfma_i32_16x16x32_i8 v[192:195], a[54:55], v[130:131], v[192:195]// 000000007F4C: D3D700C0 0F030536
	v_mfma_i32_16x16x32_i8 v[196:199], a[52:53], v[140:141], 0 // 000000007F54: D3D700C4 0A031934
	v_mfma_i32_16x16x32_i8 v[196:199], a[54:55], v[142:143], v[196:199]// 000000007F5C: D3D700C4 0F131D36
	v_mfma_i32_16x16x32_i8 v[200:203], a[56:57], v[128:129], 0 // 000000007F64: D3D700C8 0A030138
	buffer_load_dwordx4 a[8:11], v37, s[12:15], 0 offen        // 000000007F6C: E05C1000 80830825
	v_mfma_i32_16x16x32_i8 v[200:203], a[58:59], v[130:131], v[200:203]// 000000007F74: D3D700C8 0F23053A
	v_mfma_i32_16x16x32_i8 v[204:207], a[56:57], v[140:141], 0 // 000000007F7C: D3D700CC 0A031938
	v_mfma_i32_16x16x32_i8 v[204:207], a[58:59], v[142:143], v[204:207]// 000000007F84: D3D700CC 0F331D3A
	v_mfma_i32_16x16x32_i8 v[208:211], a[60:61], v[128:129], 0 // 000000007F8C: D3D700D0 0A03013C
	buffer_load_dwordx4 a[12:15], v38, s[12:15], 0 offen       // 000000007F94: E05C1000 80830C26
	s_add_u32 s12, s78, s12                                    // 000000007F9C: 800C0C4E
	s_addc_u32 s13, 0, s13                                     // 000000007FA0: 820D0D80
	v_mfma_i32_16x16x32_i8 v[208:211], a[62:63], v[130:131], v[208:211]// 000000007FA4: D3D700D0 0F43053E
	v_mfma_i32_16x16x32_i8 v[212:215], a[60:61], v[140:141], 0 // 000000007FAC: D3D700D4 0A03193C
	v_mfma_i32_16x16x32_i8 v[212:215], a[62:63], v[142:143], v[212:215]// 000000007FB4: D3D700D4 0F531D3E
	s_waitcnt vmcnt(25)                                        // 000000007FBC: BF8C4F79
	v_mfma_i32_16x16x32_i8 v[184:187], a[64:65], v[132:133], v[184:187]// 000000007FC0: D3D700B8 0EE30940
	buffer_load_dwordx4 a[16:19], v35, s[12:15], 0 offen       // 000000007FC8: E05C1000 80831023
	v_mfma_i32_16x16x32_i8 v[184:187], a[66:67], v[134:135], v[184:187]// 000000007FD0: D3D700B8 0EE30D42
	v_mfma_i32_16x16x32_i8 v[188:191], a[64:65], v[144:145], v[188:191]// 000000007FD8: D3D700BC 0EF32140
	v_mfma_i32_16x16x32_i8 v[188:191], a[66:67], v[146:147], v[188:191]// 000000007FE0: D3D700BC 0EF32542
	v_mfma_i32_16x16x32_i8 v[192:195], a[68:69], v[132:133], v[192:195]// 000000007FE8: D3D700C0 0F030944
	buffer_load_dwordx4 a[20:23], v36, s[12:15], 0 offen       // 000000007FF0: E05C1000 80831424
	v_mfma_i32_16x16x32_i8 v[192:195], a[70:71], v[134:135], v[192:195]// 000000007FF8: D3D700C0 0F030D46
	v_mfma_i32_16x16x32_i8 v[196:199], a[68:69], v[144:145], v[196:199]// 000000008000: D3D700C4 0F132144
	v_mfma_i32_16x16x32_i8 v[196:199], a[70:71], v[146:147], v[196:199]// 000000008008: D3D700C4 0F132546
	v_mfma_i32_16x16x32_i8 v[200:203], a[72:73], v[132:133], v[200:203]// 000000008010: D3D700C8 0F230948
	buffer_load_dwordx4 a[24:27], v37, s[12:15], 0 offen       // 000000008018: E05C1000 80831825
	v_mfma_i32_16x16x32_i8 v[200:203], a[74:75], v[134:135], v[200:203]// 000000008020: D3D700C8 0F230D4A
	v_mfma_i32_16x16x32_i8 v[204:207], a[72:73], v[144:145], v[204:207]// 000000008028: D3D700CC 0F332148
	v_mfma_i32_16x16x32_i8 v[204:207], a[74:75], v[146:147], v[204:207]// 000000008030: D3D700CC 0F33254A
	v_mfma_i32_16x16x32_i8 v[208:211], a[76:77], v[132:133], v[208:211]// 000000008038: D3D700D0 0F43094C
	buffer_load_dwordx4 a[28:31], v38, s[12:15], 0 offen       // 000000008040: E05C1000 80831C26
	s_add_u32 s12, s78, s12                                    // 000000008048: 800C0C4E
	s_addc_u32 s13, 0, s13                                     // 00000000804C: 820D0D80
	v_mfma_i32_16x16x32_i8 v[208:211], a[78:79], v[134:135], v[208:211]// 000000008050: D3D700D0 0F430D4E
	v_mfma_i32_16x16x32_i8 v[212:215], a[76:77], v[144:145], v[212:215]// 000000008058: D3D700D4 0F53214C
	v_mfma_i32_16x16x32_i8 v[212:215], a[78:79], v[146:147], v[212:215]// 000000008060: D3D700D4 0F53254E
	s_waitcnt vmcnt(24)                                        // 000000008068: BF8C4F78
	v_mfma_i32_16x16x32_i8 v[184:187], a[80:81], v[136:137], v[184:187]// 00000000806C: D3D700B8 0EE31150
	buffer_load_dwordx4 a[32:35], v35, s[12:15], 0 offen       // 000000008074: E05C1000 80832023
	v_mfma_i32_16x16x32_i8 v[184:187], a[82:83], v[138:139], v[184:187]// 00000000807C: D3D700B8 0EE31552
	v_mfma_i32_16x16x32_i8 v[188:191], a[80:81], v[148:149], v[188:191]// 000000008084: D3D700BC 0EF32950
	buffer_load_dword v11, v5, s[16:19], 0 offen               // 00000000808C: E0501000 80040B05
	v_mfma_i32_16x16x32_i8 v[188:191], a[82:83], v[150:151], v[188:191]// 000000008094: D3D700BC 0EF32D52
	v_mfma_i32_16x16x32_i8 v[192:195], a[84:85], v[136:137], v[192:195]// 00000000809C: D3D700C0 0F031154
	buffer_load_dwordx4 a[36:39], v36, s[12:15], 0 offen       // 0000000080A4: E05C1000 80832424
	v_mfma_i32_16x16x32_i8 v[192:195], a[86:87], v[138:139], v[192:195]// 0000000080AC: D3D700C0 0F031556
	v_mfma_i32_16x16x32_i8 v[196:199], a[84:85], v[148:149], v[196:199]// 0000000080B4: D3D700C4 0F132954
	v_mfma_i32_16x16x32_i8 v[196:199], a[86:87], v[150:151], v[196:199]// 0000000080BC: D3D700C4 0F132D56
	v_mfma_i32_16x16x32_i8 v[200:203], a[88:89], v[136:137], v[200:203]// 0000000080C4: D3D700C8 0F231158
	buffer_load_dwordx4 a[40:43], v37, s[12:15], 0 offen       // 0000000080CC: E05C1000 80832825
	v_mfma_i32_16x16x32_i8 v[200:203], a[90:91], v[138:139], v[200:203]// 0000000080D4: D3D700C8 0F23155A
	v_mfma_i32_16x16x32_i8 v[204:207], a[88:89], v[148:149], v[204:207]// 0000000080DC: D3D700CC 0F332958
	v_mfma_i32_16x16x32_i8 v[204:207], a[90:91], v[150:151], v[204:207]// 0000000080E4: D3D700CC 0F332D5A
	v_mfma_i32_16x16x32_i8 v[208:211], a[92:93], v[136:137], v[208:211]// 0000000080EC: D3D700D0 0F43115C
	buffer_load_dwordx4 a[44:47], v38, s[12:15], 0 offen       // 0000000080F4: E05C1000 80832C26
	v_mfma_i32_16x16x32_i8 v[208:211], a[94:95], v[138:139], v[208:211]// 0000000080FC: D3D700D0 0F43155E
	v_mfma_i32_16x16x32_i8 v[212:215], a[92:93], v[148:149], v[212:215]// 000000008104: D3D700D4 0F53295C
	v_mfma_i32_16x16x32_i8 v[212:215], a[94:95], v[150:151], v[212:215]// 00000000810C: D3D700D4 0F532D5E
	s_add_u32 s60, 0x200, s80                                  // 000000008114: 803C50FF 00000200
	s_cmp_lt_u32 s60, s81                                      // 00000000811C: BF0A513C
	s_cselect_b32 s56, s56, 0                                  // 000000008120: 85388038
	s_cselect_b32 s78, s78, 0                                  // 000000008124: 854E804E
	s_cselect_b32 s79, s79, 0                                  // 000000008128: 854F804F
	s_add_u32 s12, s56, s12                                    // 00000000812C: 800C0C38
	s_addc_u32 s13, 0, s13                                     // 000000008130: 820D0D80
	s_add_u32 s16, s79, s16                                    // 000000008134: 8010104F
	s_addc_u32 s17, 0, s17                                     // 000000008138: 82111180
	v_cvt_f32_i32_e32 v184, v184                               // 00000000813C: 7F700BB8
	v_cvt_f32_i32_e32 v185, v185                               // 000000008140: 7F720BB9
	v_cvt_f32_i32_e32 v186, v186                               // 000000008144: 7F740BBA
	v_cvt_f32_i32_e32 v187, v187                               // 000000008148: 7F760BBB
	v_mul_f32_e32 v184, v22, v184                              // 00000000814C: 0B717116
	v_mul_f32_e32 v185, v22, v185                              // 000000008150: 0B737316
	v_mul_f32_e32 v186, v22, v186                              // 000000008154: 0B757516
	v_mul_f32_e32 v187, v22, v187                              // 000000008158: 0B777716
	v_mul_f32_dpp v184, v12, v184 row_newbcast:0 row_mask:0xf bank_mask:0xf// 00000000815C: 0B7170FA FF01500C
	v_mul_f32_dpp v185, v12, v185 row_newbcast:1 row_mask:0xf bank_mask:0xf// 000000008164: 0B7372FA FF01510C
	v_mul_f32_dpp v186, v12, v186 row_newbcast:2 row_mask:0xf bank_mask:0xf// 00000000816C: 0B7574FA FF01520C
	v_mul_f32_dpp v187, v12, v187 row_newbcast:3 row_mask:0xf bank_mask:0xf// 000000008174: 0B7776FA FF01530C
	v_mul_f32_e32 v184, v17, v184                              // 00000000817C: 0B717111
	v_mul_f32_e32 v185, v17, v185                              // 000000008180: 0B737311
	v_mul_f32_e32 v186, v17, v186                              // 000000008184: 0B757511
	v_mul_f32_e32 v187, v17, v187                              // 000000008188: 0B777711
	v_cvt_f32_i32_e32 v188, v188                               // 00000000818C: 7F780BBC
	v_cvt_f32_i32_e32 v189, v189                               // 000000008190: 7F7A0BBD
	v_cvt_f32_i32_e32 v190, v190                               // 000000008194: 7F7C0BBE
	v_cvt_f32_i32_e32 v191, v191                               // 000000008198: 7F7E0BBF
	v_mul_f32_e32 v188, v23, v188                              // 00000000819C: 0B797917
	v_mul_f32_e32 v189, v23, v189                              // 0000000081A0: 0B7B7B17
	v_mul_f32_e32 v190, v23, v190                              // 0000000081A4: 0B7D7D17
	v_mul_f32_e32 v191, v23, v191                              // 0000000081A8: 0B7F7F17
	v_mul_f32_dpp v188, v12, v188 row_newbcast:0 row_mask:0xf bank_mask:0xf// 0000000081AC: 0B7978FA FF01500C
	v_mul_f32_dpp v189, v12, v189 row_newbcast:1 row_mask:0xf bank_mask:0xf// 0000000081B4: 0B7B7AFA FF01510C
	v_mul_f32_dpp v190, v12, v190 row_newbcast:2 row_mask:0xf bank_mask:0xf// 0000000081BC: 0B7D7CFA FF01520C
	v_mul_f32_dpp v191, v12, v191 row_newbcast:3 row_mask:0xf bank_mask:0xf// 0000000081C4: 0B7F7EFA FF01530C
	v_mul_f32_e32 v188, v18, v188                              // 0000000081CC: 0B797912
	v_mul_f32_e32 v189, v18, v189                              // 0000000081D0: 0B7B7B12
	v_mul_f32_e32 v190, v18, v190                              // 0000000081D4: 0B7D7D12
	v_mul_f32_e32 v191, v18, v191                              // 0000000081D8: 0B7F7F12
	v_cvt_f32_i32_e32 v192, v192                               // 0000000081DC: 7F800BC0
	v_cvt_f32_i32_e32 v193, v193                               // 0000000081E0: 7F820BC1
	v_cvt_f32_i32_e32 v194, v194                               // 0000000081E4: 7F840BC2
	v_cvt_f32_i32_e32 v195, v195                               // 0000000081E8: 7F860BC3
	v_mul_f32_e32 v192, v22, v192                              // 0000000081EC: 0B818116
	v_mul_f32_e32 v193, v22, v193                              // 0000000081F0: 0B838316
	v_mul_f32_e32 v194, v22, v194                              // 0000000081F4: 0B858516
	v_mul_f32_e32 v195, v22, v195                              // 0000000081F8: 0B878716
	v_mul_f32_dpp v192, v12, v192 row_newbcast:4 row_mask:0xf bank_mask:0xf// 0000000081FC: 0B8180FA FF01540C
	v_mul_f32_dpp v193, v12, v193 row_newbcast:5 row_mask:0xf bank_mask:0xf// 000000008204: 0B8382FA FF01550C
	v_mul_f32_dpp v194, v12, v194 row_newbcast:6 row_mask:0xf bank_mask:0xf// 00000000820C: 0B8584FA FF01560C
	v_mul_f32_dpp v195, v12, v195 row_newbcast:7 row_mask:0xf bank_mask:0xf// 000000008214: 0B8786FA FF01570C
	v_mul_f32_e32 v192, v17, v192                              // 00000000821C: 0B818111
	v_mul_f32_e32 v193, v17, v193                              // 000000008220: 0B838311
	v_mul_f32_e32 v194, v17, v194                              // 000000008224: 0B858511
	v_mul_f32_e32 v195, v17, v195                              // 000000008228: 0B878711
	v_cvt_f32_i32_e32 v196, v196                               // 00000000822C: 7F880BC4
	v_cvt_f32_i32_e32 v197, v197                               // 000000008230: 7F8A0BC5
	v_cvt_f32_i32_e32 v198, v198                               // 000000008234: 7F8C0BC6
	v_cvt_f32_i32_e32 v199, v199                               // 000000008238: 7F8E0BC7
	v_mul_f32_e32 v196, v23, v196                              // 00000000823C: 0B898917
	v_mul_f32_e32 v197, v23, v197                              // 000000008240: 0B8B8B17
	v_mul_f32_e32 v198, v23, v198                              // 000000008244: 0B8D8D17
	v_mul_f32_e32 v199, v23, v199                              // 000000008248: 0B8F8F17
	v_mul_f32_dpp v196, v12, v196 row_newbcast:4 row_mask:0xf bank_mask:0xf// 00000000824C: 0B8988FA FF01540C
	v_mul_f32_dpp v197, v12, v197 row_newbcast:5 row_mask:0xf bank_mask:0xf// 000000008254: 0B8B8AFA FF01550C
	v_mul_f32_dpp v198, v12, v198 row_newbcast:6 row_mask:0xf bank_mask:0xf// 00000000825C: 0B8D8CFA FF01560C
	v_mul_f32_dpp v199, v12, v199 row_newbcast:7 row_mask:0xf bank_mask:0xf// 000000008264: 0B8F8EFA FF01570C
	v_mul_f32_e32 v196, v18, v196                              // 00000000826C: 0B898912
	v_mul_f32_e32 v197, v18, v197                              // 000000008270: 0B8B8B12
	v_mul_f32_e32 v198, v18, v198                              // 000000008274: 0B8D8D12
	v_mul_f32_e32 v199, v18, v199                              // 000000008278: 0B8F8F12
	v_cvt_f32_i32_e32 v200, v200                               // 00000000827C: 7F900BC8
	v_cvt_f32_i32_e32 v201, v201                               // 000000008280: 7F920BC9
	v_cvt_f32_i32_e32 v202, v202                               // 000000008284: 7F940BCA
	v_cvt_f32_i32_e32 v203, v203                               // 000000008288: 7F960BCB
	v_mul_f32_e32 v200, v22, v200                              // 00000000828C: 0B919116
	v_mul_f32_e32 v201, v22, v201                              // 000000008290: 0B939316
	v_mul_f32_e32 v202, v22, v202                              // 000000008294: 0B959516
	v_mul_f32_e32 v203, v22, v203                              // 000000008298: 0B979716
	v_mul_f32_dpp v200, v12, v200 row_newbcast:8 row_mask:0xf bank_mask:0xf// 00000000829C: 0B9190FA FF01580C
	v_mul_f32_dpp v201, v12, v201 row_newbcast:9 row_mask:0xf bank_mask:0xf// 0000000082A4: 0B9392FA FF01590C
	v_mul_f32_dpp v202, v12, v202 row_newbcast:10 row_mask:0xf bank_mask:0xf// 0000000082AC: 0B9594FA FF015A0C
	v_mul_f32_dpp v203, v12, v203 row_newbcast:11 row_mask:0xf bank_mask:0xf// 0000000082B4: 0B9796FA FF015B0C
	v_mul_f32_e32 v200, v17, v200                              // 0000000082BC: 0B919111
	v_mul_f32_e32 v201, v17, v201                              // 0000000082C0: 0B939311
	v_mul_f32_e32 v202, v17, v202                              // 0000000082C4: 0B959511
	v_mul_f32_e32 v203, v17, v203                              // 0000000082C8: 0B979711
	v_cvt_f32_i32_e32 v204, v204                               // 0000000082CC: 7F980BCC
	v_cvt_f32_i32_e32 v205, v205                               // 0000000082D0: 7F9A0BCD
	v_cvt_f32_i32_e32 v206, v206                               // 0000000082D4: 7F9C0BCE
	v_cvt_f32_i32_e32 v207, v207                               // 0000000082D8: 7F9E0BCF
	v_mul_f32_e32 v204, v23, v204                              // 0000000082DC: 0B999917
	v_mul_f32_e32 v205, v23, v205                              // 0000000082E0: 0B9B9B17
	v_mul_f32_e32 v206, v23, v206                              // 0000000082E4: 0B9D9D17
	v_mul_f32_e32 v207, v23, v207                              // 0000000082E8: 0B9F9F17
	v_mul_f32_dpp v204, v12, v204 row_newbcast:8 row_mask:0xf bank_mask:0xf// 0000000082EC: 0B9998FA FF01580C
	v_mul_f32_dpp v205, v12, v205 row_newbcast:9 row_mask:0xf bank_mask:0xf// 0000000082F4: 0B9B9AFA FF01590C
	v_mul_f32_dpp v206, v12, v206 row_newbcast:10 row_mask:0xf bank_mask:0xf// 0000000082FC: 0B9D9CFA FF015A0C
	v_mul_f32_dpp v207, v12, v207 row_newbcast:11 row_mask:0xf bank_mask:0xf// 000000008304: 0B9F9EFA FF015B0C
	v_mul_f32_e32 v204, v18, v204                              // 00000000830C: 0B999912
	v_mul_f32_e32 v205, v18, v205                              // 000000008310: 0B9B9B12
	v_mul_f32_e32 v206, v18, v206                              // 000000008314: 0B9D9D12
	v_mul_f32_e32 v207, v18, v207                              // 000000008318: 0B9F9F12
	v_cvt_f32_i32_e32 v208, v208                               // 00000000831C: 7FA00BD0
	v_cvt_f32_i32_e32 v209, v209                               // 000000008320: 7FA20BD1
	v_cvt_f32_i32_e32 v210, v210                               // 000000008324: 7FA40BD2
	v_cvt_f32_i32_e32 v211, v211                               // 000000008328: 7FA60BD3
	v_mul_f32_e32 v208, v22, v208                              // 00000000832C: 0BA1A116
	v_mul_f32_e32 v209, v22, v209                              // 000000008330: 0BA3A316
	v_mul_f32_e32 v210, v22, v210                              // 000000008334: 0BA5A516
	v_mul_f32_e32 v211, v22, v211                              // 000000008338: 0BA7A716
	v_mul_f32_dpp v208, v12, v208 row_newbcast:12 row_mask:0xf bank_mask:0xf// 00000000833C: 0BA1A0FA FF015C0C
	v_mul_f32_dpp v209, v12, v209 row_newbcast:13 row_mask:0xf bank_mask:0xf// 000000008344: 0BA3A2FA FF015D0C
	v_mul_f32_dpp v210, v12, v210 row_newbcast:14 row_mask:0xf bank_mask:0xf// 00000000834C: 0BA5A4FA FF015E0C
	v_mul_f32_dpp v211, v12, v211 row_newbcast:15 row_mask:0xf bank_mask:0xf// 000000008354: 0BA7A6FA FF015F0C
	v_mul_f32_e32 v208, v17, v208                              // 00000000835C: 0BA1A111
	v_mul_f32_e32 v209, v17, v209                              // 000000008360: 0BA3A311
	v_mul_f32_e32 v210, v17, v210                              // 000000008364: 0BA5A511
	v_mul_f32_e32 v211, v17, v211                              // 000000008368: 0BA7A711
	v_cvt_f32_i32_e32 v212, v212                               // 00000000836C: 7FA80BD4
	v_cvt_f32_i32_e32 v213, v213                               // 000000008370: 7FAA0BD5
	v_cvt_f32_i32_e32 v214, v214                               // 000000008374: 7FAC0BD6
	v_cvt_f32_i32_e32 v215, v215                               // 000000008378: 7FAE0BD7
	v_mul_f32_e32 v212, v23, v212                              // 00000000837C: 0BA9A917
	v_mul_f32_e32 v213, v23, v213                              // 000000008380: 0BABAB17
	v_mul_f32_e32 v214, v23, v214                              // 000000008384: 0BADAD17
	v_mul_f32_e32 v215, v23, v215                              // 000000008388: 0BAFAF17
	v_mul_f32_dpp v212, v12, v212 row_newbcast:12 row_mask:0xf bank_mask:0xf// 00000000838C: 0BA9A8FA FF015C0C
	v_mul_f32_dpp v213, v12, v213 row_newbcast:13 row_mask:0xf bank_mask:0xf// 000000008394: 0BABAAFA FF015D0C
	v_mul_f32_dpp v214, v12, v214 row_newbcast:14 row_mask:0xf bank_mask:0xf// 00000000839C: 0BADACFA FF015E0C
	v_mul_f32_dpp v215, v12, v215 row_newbcast:15 row_mask:0xf bank_mask:0xf// 0000000083A4: 0BAFAEFA FF015F0C
	v_mul_f32_e32 v212, v18, v212                              // 0000000083AC: 0BA9A912
	v_mul_f32_e32 v213, v18, v213                              // 0000000083B0: 0BABAB12
	v_mul_f32_e32 v214, v18, v214                              // 0000000083B4: 0BADAD12
	v_mul_f32_e32 v215, v18, v215                              // 0000000083B8: 0BAFAF12
	v_cmp_u_f32_e64 s[48:49], v184, v184                       // 0000000083BC: D0480030 000371B8
	v_add3_u32 v39, v184, v42, 1                               // 0000000083C4: D1FF0027 020655B8
	v_cndmask_b32_e64 v44, v39, v41, s[48:49]                  // 0000000083CC: D100002C 00C25327
	v_cmp_u_f32_e64 s[48:49], v185, v185                       // 0000000083D4: D0480030 000373B9
	v_add3_u32 v39, v185, v42, 1                               // 0000000083DC: D1FF0027 020655B9
	v_cndmask_b32_e64 v45, v39, v41, s[48:49]                  // 0000000083E4: D100002D 00C25327
	v_perm_b32 v184, v45, v44, s52                             // 0000000083EC: D1ED00B8 00D2592D
	v_cmp_u_f32_e64 s[48:49], v186, v186                       // 0000000083F4: D0480030 000375BA
	v_add3_u32 v39, v186, v42, 1                               // 0000000083FC: D1FF0027 020655BA
	v_cndmask_b32_e64 v44, v39, v41, s[48:49]                  // 000000008404: D100002C 00C25327
	v_cmp_u_f32_e64 s[48:49], v187, v187                       // 00000000840C: D0480030 000377BB
	v_add3_u32 v39, v187, v42, 1                               // 000000008414: D1FF0027 020655BB
	v_cndmask_b32_e64 v45, v39, v41, s[48:49]                  // 00000000841C: D100002D 00C25327
	v_perm_b32 v185, v45, v44, s52                             // 000000008424: D1ED00B9 00D2592D
	v_cmp_u_f32_e64 s[48:49], v188, v188                       // 00000000842C: D0480030 000379BC
	v_add3_u32 v39, v188, v42, 1                               // 000000008434: D1FF0027 020655BC
	v_cndmask_b32_e64 v44, v39, v41, s[48:49]                  // 00000000843C: D100002C 00C25327
	v_cmp_u_f32_e64 s[48:49], v189, v189                       // 000000008444: D0480030 00037BBD
	v_add3_u32 v39, v189, v42, 1                               // 00000000844C: D1FF0027 020655BD
	v_cndmask_b32_e64 v45, v39, v41, s[48:49]                  // 000000008454: D100002D 00C25327
	v_perm_b32 v186, v45, v44, s52                             // 00000000845C: D1ED00BA 00D2592D
	v_cmp_u_f32_e64 s[48:49], v190, v190                       // 000000008464: D0480030 00037DBE
	v_add3_u32 v39, v190, v42, 1                               // 00000000846C: D1FF0027 020655BE
	v_cndmask_b32_e64 v44, v39, v41, s[48:49]                  // 000000008474: D100002C 00C25327
	v_cmp_u_f32_e64 s[48:49], v191, v191                       // 00000000847C: D0480030 00037FBF
	v_add3_u32 v39, v191, v42, 1                               // 000000008484: D1FF0027 020655BF
	v_cndmask_b32_e64 v45, v39, v41, s[48:49]                  // 00000000848C: D100002D 00C25327
	v_perm_b32 v187, v45, v44, s52                             // 000000008494: D1ED00BB 00D2592D
	v_cmp_u_f32_e64 s[48:49], v192, v192                       // 00000000849C: D0480030 000381C0
	v_add3_u32 v39, v192, v42, 1                               // 0000000084A4: D1FF0027 020655C0
	v_cndmask_b32_e64 v44, v39, v41, s[48:49]                  // 0000000084AC: D100002C 00C25327
	v_cmp_u_f32_e64 s[48:49], v193, v193                       // 0000000084B4: D0480030 000383C1
	v_add3_u32 v39, v193, v42, 1                               // 0000000084BC: D1FF0027 020655C1
	v_cndmask_b32_e64 v45, v39, v41, s[48:49]                  // 0000000084C4: D100002D 00C25327
	v_perm_b32 v188, v45, v44, s52                             // 0000000084CC: D1ED00BC 00D2592D
	v_cmp_u_f32_e64 s[48:49], v194, v194                       // 0000000084D4: D0480030 000385C2
	v_add3_u32 v39, v194, v42, 1                               // 0000000084DC: D1FF0027 020655C2
	v_cndmask_b32_e64 v44, v39, v41, s[48:49]                  // 0000000084E4: D100002C 00C25327
	v_cmp_u_f32_e64 s[48:49], v195, v195                       // 0000000084EC: D0480030 000387C3
	v_add3_u32 v39, v195, v42, 1                               // 0000000084F4: D1FF0027 020655C3
	v_cndmask_b32_e64 v45, v39, v41, s[48:49]                  // 0000000084FC: D100002D 00C25327
	v_perm_b32 v189, v45, v44, s52                             // 000000008504: D1ED00BD 00D2592D
	v_cmp_u_f32_e64 s[48:49], v196, v196                       // 00000000850C: D0480030 000389C4
	v_add3_u32 v39, v196, v42, 1                               // 000000008514: D1FF0027 020655C4
	v_cndmask_b32_e64 v44, v39, v41, s[48:49]                  // 00000000851C: D100002C 00C25327
	v_cmp_u_f32_e64 s[48:49], v197, v197                       // 000000008524: D0480030 00038BC5
	v_add3_u32 v39, v197, v42, 1                               // 00000000852C: D1FF0027 020655C5
	v_cndmask_b32_e64 v45, v39, v41, s[48:49]                  // 000000008534: D100002D 00C25327
	v_perm_b32 v190, v45, v44, s52                             // 00000000853C: D1ED00BE 00D2592D
	v_cmp_u_f32_e64 s[48:49], v198, v198                       // 000000008544: D0480030 00038DC6
	v_add3_u32 v39, v198, v42, 1                               // 00000000854C: D1FF0027 020655C6
	v_cndmask_b32_e64 v44, v39, v41, s[48:49]                  // 000000008554: D100002C 00C25327
	v_cmp_u_f32_e64 s[48:49], v199, v199                       // 00000000855C: D0480030 00038FC7
	v_add3_u32 v39, v199, v42, 1                               // 000000008564: D1FF0027 020655C7
	v_cndmask_b32_e64 v45, v39, v41, s[48:49]                  // 00000000856C: D100002D 00C25327
	v_perm_b32 v191, v45, v44, s52                             // 000000008574: D1ED00BF 00D2592D
	v_cmp_u_f32_e64 s[48:49], v200, v200                       // 00000000857C: D0480030 000391C8
	v_add3_u32 v39, v200, v42, 1                               // 000000008584: D1FF0027 020655C8
	v_cndmask_b32_e64 v44, v39, v41, s[48:49]                  // 00000000858C: D100002C 00C25327
	v_cmp_u_f32_e64 s[48:49], v201, v201                       // 000000008594: D0480030 000393C9
	v_add3_u32 v39, v201, v42, 1                               // 00000000859C: D1FF0027 020655C9
	v_cndmask_b32_e64 v45, v39, v41, s[48:49]                  // 0000000085A4: D100002D 00C25327
	v_perm_b32 v192, v45, v44, s52                             // 0000000085AC: D1ED00C0 00D2592D
	v_cmp_u_f32_e64 s[48:49], v202, v202                       // 0000000085B4: D0480030 000395CA
	v_add3_u32 v39, v202, v42, 1                               // 0000000085BC: D1FF0027 020655CA
	v_cndmask_b32_e64 v44, v39, v41, s[48:49]                  // 0000000085C4: D100002C 00C25327
	v_cmp_u_f32_e64 s[48:49], v203, v203                       // 0000000085CC: D0480030 000397CB
	v_add3_u32 v39, v203, v42, 1                               // 0000000085D4: D1FF0027 020655CB
	v_cndmask_b32_e64 v45, v39, v41, s[48:49]                  // 0000000085DC: D100002D 00C25327
	v_perm_b32 v193, v45, v44, s52                             // 0000000085E4: D1ED00C1 00D2592D
	v_cmp_u_f32_e64 s[48:49], v204, v204                       // 0000000085EC: D0480030 000399CC
	v_add3_u32 v39, v204, v42, 1                               // 0000000085F4: D1FF0027 020655CC
	v_cndmask_b32_e64 v44, v39, v41, s[48:49]                  // 0000000085FC: D100002C 00C25327
	v_cmp_u_f32_e64 s[48:49], v205, v205                       // 000000008604: D0480030 00039BCD
	v_add3_u32 v39, v205, v42, 1                               // 00000000860C: D1FF0027 020655CD
	v_cndmask_b32_e64 v45, v39, v41, s[48:49]                  // 000000008614: D100002D 00C25327
	v_perm_b32 v194, v45, v44, s52                             // 00000000861C: D1ED00C2 00D2592D
	v_cmp_u_f32_e64 s[48:49], v206, v206                       // 000000008624: D0480030 00039DCE
	v_add3_u32 v39, v206, v42, 1                               // 00000000862C: D1FF0027 020655CE
	v_cndmask_b32_e64 v44, v39, v41, s[48:49]                  // 000000008634: D100002C 00C25327
	v_cmp_u_f32_e64 s[48:49], v207, v207                       // 00000000863C: D0480030 00039FCF
	v_add3_u32 v39, v207, v42, 1                               // 000000008644: D1FF0027 020655CF
	v_cndmask_b32_e64 v45, v39, v41, s[48:49]                  // 00000000864C: D100002D 00C25327
	v_perm_b32 v195, v45, v44, s52                             // 000000008654: D1ED00C3 00D2592D
	v_cmp_u_f32_e64 s[48:49], v208, v208                       // 00000000865C: D0480030 0003A1D0
	v_add3_u32 v39, v208, v42, 1                               // 000000008664: D1FF0027 020655D0
	v_cndmask_b32_e64 v44, v39, v41, s[48:49]                  // 00000000866C: D100002C 00C25327
	v_cmp_u_f32_e64 s[48:49], v209, v209                       // 000000008674: D0480030 0003A3D1
	v_add3_u32 v39, v209, v42, 1                               // 00000000867C: D1FF0027 020655D1
	v_cndmask_b32_e64 v45, v39, v41, s[48:49]                  // 000000008684: D100002D 00C25327
	v_perm_b32 v196, v45, v44, s52                             // 00000000868C: D1ED00C4 00D2592D
	v_cmp_u_f32_e64 s[48:49], v210, v210                       // 000000008694: D0480030 0003A5D2
	v_add3_u32 v39, v210, v42, 1                               // 00000000869C: D1FF0027 020655D2
	v_cndmask_b32_e64 v44, v39, v41, s[48:49]                  // 0000000086A4: D100002C 00C25327
	v_cmp_u_f32_e64 s[48:49], v211, v211                       // 0000000086AC: D0480030 0003A7D3
	v_add3_u32 v39, v211, v42, 1                               // 0000000086B4: D1FF0027 020655D3
	v_cndmask_b32_e64 v45, v39, v41, s[48:49]                  // 0000000086BC: D100002D 00C25327
	v_perm_b32 v197, v45, v44, s52                             // 0000000086C4: D1ED00C5 00D2592D
	v_cmp_u_f32_e64 s[48:49], v212, v212                       // 0000000086CC: D0480030 0003A9D4
	v_add3_u32 v39, v212, v42, 1                               // 0000000086D4: D1FF0027 020655D4
	v_cndmask_b32_e64 v44, v39, v41, s[48:49]                  // 0000000086DC: D100002C 00C25327
	v_cmp_u_f32_e64 s[48:49], v213, v213                       // 0000000086E4: D0480030 0003ABD5
	v_add3_u32 v39, v213, v42, 1                               // 0000000086EC: D1FF0027 020655D5
	v_cndmask_b32_e64 v45, v39, v41, s[48:49]                  // 0000000086F4: D100002D 00C25327
	v_perm_b32 v198, v45, v44, s52                             // 0000000086FC: D1ED00C6 00D2592D
	v_cmp_u_f32_e64 s[48:49], v214, v214                       // 000000008704: D0480030 0003ADD6
	v_add3_u32 v39, v214, v42, 1                               // 00000000870C: D1FF0027 020655D6
	v_cndmask_b32_e64 v44, v39, v41, s[48:49]                  // 000000008714: D100002C 00C25327
	v_cmp_u_f32_e64 s[48:49], v215, v215                       // 00000000871C: D0480030 0003AFD7
	v_add3_u32 v39, v215, v42, 1                               // 000000008724: D1FF0027 020655D7
	v_cndmask_b32_e64 v45, v39, v41, s[48:49]                  // 00000000872C: D100002D 00C25327
	v_perm_b32 v199, v45, v44, s52                             // 000000008734: D1ED00C7 00D2592D
	ds_write_b64 v3, v[184:185] offset:24832                   // 00000000873C: D89A6100 0000B803
	ds_write_b64 v3, v[186:187] offset:33536                   // 000000008744: D89A8300 0000BA03
	ds_write_b64 v3, v[188:189] offset:27008                   // 00000000874C: D89A6980 0000BC03
	ds_write_b64 v3, v[190:191] offset:35712                   // 000000008754: D89A8B80 0000BE03
	ds_write_b64 v3, v[192:193] offset:29184                   // 00000000875C: D89A7200 0000C003
	ds_write_b64 v3, v[194:195] offset:37888                   // 000000008764: D89A9400 0000C203
	ds_write_b64 v3, v[196:197] offset:31360                   // 00000000876C: D89A7A80 0000C403
	ds_write_b64 v3, v[198:199] offset:40064                   // 000000008774: D89A9C80 0000C603
	s_waitcnt lgkmcnt(0)                                       // 00000000877C: BF8CC07F
	s_barrier                                                  // 000000008780: BF8A0000
	ds_read_b32 v64, v4 offset:24832                           // 000000008784: D86C6100 40000004
	ds_read_b32 v65, v4 offset:29184                           // 00000000878C: D86C7200 41000004
	ds_read_b32 v66, v4 offset:24864                           // 000000008794: D86C6120 42000004
	ds_read_b32 v67, v4 offset:29216                           // 00000000879C: D86C7220 43000004
	ds_read_b32 v68, v4 offset:24896                           // 0000000087A4: D86C6140 44000004
	ds_read_b32 v69, v4 offset:29248                           // 0000000087AC: D86C7240 45000004
	ds_read_b32 v70, v4 offset:24928                           // 0000000087B4: D86C6160 46000004
	ds_read_b32 v71, v4 offset:29280                           // 0000000087BC: D86C7260 47000004
	ds_read_b32 v72, v4 offset:33536                           // 0000000087C4: D86C8300 48000004
	ds_read_b32 v73, v4 offset:37888                           // 0000000087CC: D86C9400 49000004
	ds_read_b32 v74, v4 offset:33568                           // 0000000087D4: D86C8320 4A000004
	ds_read_b32 v75, v4 offset:37920                           // 0000000087DC: D86C9420 4B000004
	ds_read_b32 v76, v4 offset:33600                           // 0000000087E4: D86C8340 4C000004
	ds_read_b32 v77, v4 offset:37952                           // 0000000087EC: D86C9440 4D000004
	ds_read_b32 v78, v4 offset:33632                           // 0000000087F4: D86C8360 4E000004
	ds_read_b32 v79, v4 offset:37984                           // 0000000087FC: D86C9460 4F000004
	s_waitcnt lgkmcnt(0)                                       // 000000008804: BF8CC07F
	s_mov_b64 exec, s[20:21]                                   // 000000008808: BEFE0114
	global_atomic_pk_add_bf16 v80, v64, s[8:9]                 // 00000000880C: DD488000 00084050
	s_mov_b64 exec, s[36:37]                                   // 000000008814: BEFE0124
	s_mov_b64 exec, s[20:21]                                   // 000000008818: BEFE0114
	global_atomic_pk_add_bf16 v80, v65, s[8:9] offset:256      // 00000000881C: DD488100 00084150
	s_mov_b64 exec, s[36:37]                                   // 000000008824: BEFE0124
	s_mov_b64 exec, s[22:23]                                   // 000000008828: BEFE0116
	global_atomic_pk_add_bf16 v82, v66, s[8:9]                 // 00000000882C: DD488000 00084252
	s_mov_b64 exec, s[36:37]                                   // 000000008834: BEFE0124
	s_mov_b64 exec, s[22:23]                                   // 000000008838: BEFE0116
	global_atomic_pk_add_bf16 v82, v67, s[8:9] offset:256      // 00000000883C: DD488100 00084352
	s_mov_b64 exec, s[36:37]                                   // 000000008844: BEFE0124
	s_mov_b64 exec, s[24:25]                                   // 000000008848: BEFE0118
	global_atomic_pk_add_bf16 v84, v68, s[8:9]                 // 00000000884C: DD488000 00084454
	s_mov_b64 exec, s[36:37]                                   // 000000008854: BEFE0124
	s_mov_b64 exec, s[24:25]                                   // 000000008858: BEFE0118
	global_atomic_pk_add_bf16 v84, v69, s[8:9] offset:256      // 00000000885C: DD488100 00084554
	s_mov_b64 exec, s[36:37]                                   // 000000008864: BEFE0124
	s_mov_b64 exec, s[26:27]                                   // 000000008868: BEFE011A
	global_atomic_pk_add_bf16 v86, v70, s[8:9]                 // 00000000886C: DD488000 00084656
	s_mov_b64 exec, s[36:37]                                   // 000000008874: BEFE0124
	s_mov_b64 exec, s[26:27]                                   // 000000008878: BEFE011A
	global_atomic_pk_add_bf16 v86, v71, s[8:9] offset:256      // 00000000887C: DD488100 00084756
	s_mov_b64 exec, s[36:37]                                   // 000000008884: BEFE0124
	s_mov_b64 exec, s[28:29]                                   // 000000008888: BEFE011C
	global_atomic_pk_add_bf16 v88, v72, s[8:9]                 // 00000000888C: DD488000 00084858
	s_mov_b64 exec, s[36:37]                                   // 000000008894: BEFE0124
	s_mov_b64 exec, s[28:29]                                   // 000000008898: BEFE011C
	global_atomic_pk_add_bf16 v88, v73, s[8:9] offset:256      // 00000000889C: DD488100 00084958
	s_mov_b64 exec, s[36:37]                                   // 0000000088A4: BEFE0124
	s_mov_b64 exec, s[30:31]                                   // 0000000088A8: BEFE011E
	global_atomic_pk_add_bf16 v90, v74, s[8:9]                 // 0000000088AC: DD488000 00084A5A
	s_mov_b64 exec, s[36:37]                                   // 0000000088B4: BEFE0124
	s_mov_b64 exec, s[30:31]                                   // 0000000088B8: BEFE011E
	global_atomic_pk_add_bf16 v90, v75, s[8:9] offset:256      // 0000000088BC: DD488100 00084B5A
	s_mov_b64 exec, s[36:37]                                   // 0000000088C4: BEFE0124
	s_mov_b64 exec, s[32:33]                                   // 0000000088C8: BEFE0120
	global_atomic_pk_add_bf16 v92, v76, s[8:9]                 // 0000000088CC: DD488000 00084C5C
	s_mov_b64 exec, s[36:37]                                   // 0000000088D4: BEFE0124
	s_mov_b64 exec, s[32:33]                                   // 0000000088D8: BEFE0120
	global_atomic_pk_add_bf16 v92, v77, s[8:9] offset:256      // 0000000088DC: DD488100 00084D5C
	s_mov_b64 exec, s[36:37]                                   // 0000000088E4: BEFE0124
	s_mov_b64 exec, s[34:35]                                   // 0000000088E8: BEFE0122
	global_atomic_pk_add_bf16 v94, v78, s[8:9]                 // 0000000088EC: DD488000 00084E5E
	s_mov_b64 exec, s[36:37]                                   // 0000000088F4: BEFE0124
	s_mov_b64 exec, s[34:35]                                   // 0000000088F8: BEFE0122
	global_atomic_pk_add_bf16 v94, v79, s[8:9] offset:256      // 0000000088FC: DD488100 00084F5E
	s_mov_b64 exec, s[36:37]                                   // 000000008904: BEFE0124
	s_add_u32 s8, s59, s8                                      // 000000008908: 8008083B
	s_addc_u32 s9, 0, s9                                       // 00000000890C: 82090980
	s_addk_i32 s80, 0x100                                      // 000000008910: B7500100
	s_cmp_lt_i32 s80, s81                                      // 000000008914: BF045150
	s_cbranch_scc0 label_0CD8                                  // 000000008918: BF84F551
	s_branch label_127F                                        // 00000000891C: BF82FAF7

0000000000008920 <label_1788>:
	s_waitcnt vmcnt(0) expcnt(0) lgkmcnt(0)                    // 000000008920: BF8C0000
	s_endpgm                                                   // 000000008924: BF810000
